;; amdgpu-corpus repo=ROCm/rocFFT kind=compiled arch=gfx906 opt=O3
	.text
	.amdgcn_target "amdgcn-amd-amdhsa--gfx906"
	.amdhsa_code_object_version 6
	.protected	bluestein_single_back_len150_dim1_half_op_CI_CI ; -- Begin function bluestein_single_back_len150_dim1_half_op_CI_CI
	.globl	bluestein_single_back_len150_dim1_half_op_CI_CI
	.p2align	8
	.type	bluestein_single_back_len150_dim1_half_op_CI_CI,@function
bluestein_single_back_len150_dim1_half_op_CI_CI: ; @bluestein_single_back_len150_dim1_half_op_CI_CI
; %bb.0:
	v_mul_u32_u24_e32 v1, 0x3334, v0
	s_load_dwordx4 s[16:19], s[4:5], 0x28
	v_lshrrev_b32_e32 v1, 16, v1
	v_mad_u64_u32 v[16:17], s[0:1], s6, 12, v[1:2]
	v_mov_b32_e32 v17, 0
	s_waitcnt lgkmcnt(0)
	v_cmp_gt_u64_e32 vcc, s[16:17], v[16:17]
	s_and_saveexec_b64 s[0:1], vcc
	s_cbranch_execz .LBB0_2
; %bb.1:
	s_load_dwordx4 s[8:11], s[4:5], 0x18
	s_load_dwordx4 s[0:3], s[4:5], 0x0
	v_mul_lo_u16_e32 v1, 5, v1
	v_sub_u16_e32 v75, v0, v1
	v_mov_b32_e32 v7, s19
	s_waitcnt lgkmcnt(0)
	s_load_dwordx4 s[12:15], s[8:9], 0x0
	v_lshlrev_b32_e32 v37, 2, v75
	global_load_dword v76, v37, s[0:1]
	v_or_b32_e32 v66, 0x78, v75
	v_mov_b32_e32 v52, 0xfffffdf8
	s_waitcnt lgkmcnt(0)
	v_mad_u64_u32 v[0:1], s[6:7], s14, v16, 0
	v_mad_u64_u32 v[2:3], s[6:7], s12, v75, 0
	s_mul_i32 s8, s13, 60
	s_mul_hi_u32 s14, s12, 60
	v_mad_u64_u32 v[4:5], s[6:7], s15, v16, v[1:2]
	s_mul_i32 s15, s12, 60
	v_or_b32_e32 v59, 0x50, v75
	v_mad_u64_u32 v[5:6], s[6:7], s13, v75, v[3:4]
	v_mov_b32_e32 v1, v4
	v_lshlrev_b64 v[0:1], 2, v[0:1]
	v_mov_b32_e32 v3, v5
	v_add_co_u32_e32 v0, vcc, s18, v0
	v_lshlrev_b64 v[2:3], 2, v[2:3]
	v_addc_co_u32_e32 v1, vcc, v7, v1, vcc
	s_add_u32 s6, s0, 0x258
	v_add_co_u32_e32 v2, vcc, v0, v2
	s_addc_u32 s7, s1, 0
	v_addc_co_u32_e32 v3, vcc, v1, v3, vcc
	s_add_i32 s14, s14, s8
	global_load_dword v4, v[2:3], off
	v_mov_b32_e32 v5, s14
	v_add_co_u32_e32 v2, vcc, s15, v2
	v_addc_co_u32_e32 v3, vcc, v3, v5, vcc
	global_load_dword v5, v[2:3], off
	global_load_dword v74, v37, s[0:1] offset:60
	v_mov_b32_e32 v6, s14
	v_add_co_u32_e32 v2, vcc, s15, v2
	v_addc_co_u32_e32 v3, vcc, v3, v6, vcc
	global_load_dword v6, v[2:3], off
	global_load_dword v73, v37, s[0:1] offset:120
	;; [unrolled: 5-line block ×5, first 2 shown]
	s_mov_b32 s8, 0xaaaaaaab
	v_mul_hi_u32 v10, v16, s8
	s_load_dwordx4 s[8:11], s[10:11], 0x0
	global_load_dword v64, v37, s[0:1] offset:20
	global_load_dword v63, v37, s[0:1] offset:80
	;; [unrolled: 1-line block ×10, first 2 shown]
	v_lshrrev_b32_e32 v10, 3, v10
	v_mul_lo_u32 v10, v10, 12
	v_add_co_u32_e32 v2, vcc, s15, v2
	global_load_dword v72, v37, s[0:1] offset:360
	v_sub_u32_e32 v10, v16, v10
	v_mul_u32_u24_e32 v10, 0x96, v10
	v_lshlrev_b32_e32 v17, 2, v10
	v_add_u32_e32 v53, v37, v17
	v_or_b32_e32 v51, 40, v75
	v_mov_b32_e32 v22, s14
	v_mov_b32_e32 v24, s14
	s_load_dwordx2 s[4:5], s[4:5], 0x38
	s_waitcnt vmcnt(21)
	v_lshrrev_b32_e32 v10, 16, v4
	v_mul_f16_sdwa v11, v76, v4 dst_sel:DWORD dst_unused:UNUSED_PAD src0_sel:WORD_1 src1_sel:DWORD
	v_mul_f16_sdwa v12, v76, v10 dst_sel:DWORD dst_unused:UNUSED_PAD src0_sel:WORD_1 src1_sel:DWORD
	v_fma_f16 v10, v76, v10, -v11
	v_fma_f16 v4, v76, v4, v12
	s_waitcnt vmcnt(20)
	v_lshrrev_b32_e32 v11, 16, v5
	s_waitcnt vmcnt(19)
	v_mul_f16_sdwa v13, v74, v5 dst_sel:DWORD dst_unused:UNUSED_PAD src0_sel:WORD_1 src1_sel:DWORD
	v_mul_f16_sdwa v12, v74, v11 dst_sel:DWORD dst_unused:UNUSED_PAD src0_sel:WORD_1 src1_sel:DWORD
	v_fma_f16 v11, v74, v11, -v13
	v_pack_b32_f16 v10, v4, v10
	v_fma_f16 v4, v74, v5, v12
	s_waitcnt vmcnt(18)
	v_lshrrev_b32_e32 v13, 16, v6
	s_waitcnt vmcnt(17)
	v_mul_f16_sdwa v14, v73, v6 dst_sel:DWORD dst_unused:UNUSED_PAD src0_sel:WORD_1 src1_sel:DWORD
	v_mul_f16_sdwa v5, v73, v13 dst_sel:DWORD dst_unused:UNUSED_PAD src0_sel:WORD_1 src1_sel:DWORD
	v_fma_f16 v12, v73, v13, -v14
	v_pack_b32_f16 v4, v4, v11
	v_fma_f16 v5, v73, v6, v5
	s_waitcnt vmcnt(16)
	v_lshrrev_b32_e32 v13, 16, v7
	ds_write_b32 v53, v4 offset:60
	v_pack_b32_f16 v4, v5, v12
	ds_write_b32 v53, v4 offset:120
	s_waitcnt vmcnt(15)
	v_mul_f16_sdwa v4, v71, v13 dst_sel:DWORD dst_unused:UNUSED_PAD src0_sel:WORD_1 src1_sel:DWORD
	v_mul_f16_sdwa v5, v71, v7 dst_sel:DWORD dst_unused:UNUSED_PAD src0_sel:WORD_1 src1_sel:DWORD
	v_fma_f16 v4, v71, v7, v4
	v_fma_f16 v5, v71, v13, -v5
	v_pack_b32_f16 v4, v4, v5
	ds_write_b32 v53, v4 offset:180
	s_waitcnt vmcnt(14)
	v_lshrrev_b32_e32 v4, 16, v8
	s_waitcnt vmcnt(13)
	v_mul_f16_sdwa v5, v69, v4 dst_sel:DWORD dst_unused:UNUSED_PAD src0_sel:WORD_1 src1_sel:DWORD
	v_mul_f16_sdwa v6, v69, v8 dst_sel:DWORD dst_unused:UNUSED_PAD src0_sel:WORD_1 src1_sel:DWORD
	v_fma_f16 v5, v69, v8, v5
	v_fma_f16 v4, v69, v4, -v6
	v_mov_b32_e32 v6, s14
	v_addc_co_u32_e32 v3, vcc, v3, v6, vcc
	v_pack_b32_f16 v4, v5, v4
	s_waitcnt vmcnt(12)
	v_lshrrev_b32_e32 v6, 16, v9
	ds_write_b32 v53, v4 offset:240
	s_waitcnt vmcnt(11)
	v_mul_f16_sdwa v4, v67, v6 dst_sel:DWORD dst_unused:UNUSED_PAD src0_sel:WORD_1 src1_sel:DWORD
	v_fma_f16 v8, v67, v9, v4
	v_mad_u64_u32 v[4:5], s[16:17], s12, v66, 0
	global_load_dword v7, v[2:3], off
	v_mul_f16_sdwa v9, v67, v9 dst_sel:DWORD dst_unused:UNUSED_PAD src0_sel:WORD_1 src1_sel:DWORD
	v_fma_f16 v9, v67, v6, -v9
	v_mad_u64_u32 v[5:6], s[16:17], s13, v66, v[5:6]
	v_mov_b32_e32 v11, s14
	v_add_co_u32_e32 v2, vcc, s15, v2
	v_addc_co_u32_e32 v3, vcc, v3, v11, vcc
	global_load_dword v11, v[2:3], off
	global_load_dword v70, v37, s[0:1] offset:420
	v_lshlrev_b64 v[4:5], 2, v[4:5]
	s_mul_i32 s16, s13, 0x78
	v_add_co_u32_e32 v4, vcc, v0, v4
	s_mul_hi_u32 s17, s12, 0x78
	v_addc_co_u32_e32 v5, vcc, v1, v5, vcc
	s_add_i32 s16, s17, s16
	s_mul_i32 s17, s12, 0x78
	global_load_dword v12, v[4:5], off
	global_load_dword v68, v37, s[0:1] offset:480
	v_mov_b32_e32 v4, s16
	v_add_co_u32_e32 v2, vcc, s17, v2
	v_addc_co_u32_e32 v3, vcc, v3, v4, vcc
	global_load_dword v13, v[2:3], off
	v_mad_u64_u32 v[2:3], s[18:19], s12, v52, v[2:3]
	global_load_dword v65, v37, s[0:1] offset:540
	s_mul_i32 s18, s13, 0xfffffdf8
	s_sub_i32 s20, s18, s12
	v_add_u32_e32 v3, s20, v3
	global_load_dword v14, v[2:3], off
	v_mov_b32_e32 v4, s14
	v_add_co_u32_e32 v2, vcc, s15, v2
	v_addc_co_u32_e32 v3, vcc, v3, v4, vcc
	global_load_dword v15, v[2:3], off
	v_add_co_u32_e32 v2, vcc, s15, v2
	v_addc_co_u32_e32 v3, vcc, v3, v4, vcc
	global_load_dword v18, v[2:3], off
	v_add_co_u32_e32 v2, vcc, s15, v2
	v_addc_co_u32_e32 v3, vcc, v3, v4, vcc
	v_mad_u64_u32 v[4:5], s[18:19], s12, v59, 0
	global_load_dword v19, v[2:3], off
	v_mov_b32_e32 v6, s14
	v_add_co_u32_e32 v2, vcc, s15, v2
	v_addc_co_u32_e32 v3, vcc, v3, v6, vcc
	v_mad_u64_u32 v[5:6], s[18:19], s13, v59, v[5:6]
	global_load_dword v20, v[2:3], off
	v_pack_b32_f16 v6, v8, v9
	v_lshlrev_b64 v[4:5], 2, v[4:5]
	ds_write_b32 v53, v6 offset:300
	v_add_co_u32_e32 v4, vcc, v0, v4
	v_addc_co_u32_e32 v5, vcc, v1, v5, vcc
	global_load_dword v8, v[4:5], off
	global_load_dword v61, v37, s[0:1] offset:320
	v_mov_b32_e32 v4, s16
	v_add_co_u32_e32 v2, vcc, s17, v2
	v_addc_co_u32_e32 v3, vcc, v3, v4, vcc
	global_load_dword v9, v[2:3], off
	global_load_dword v58, v37, s[0:1] offset:380
	global_load_dword v56, v37, s[0:1] offset:440
	;; [unrolled: 1-line block ×5, first 2 shown]
	v_add_co_u32_e32 v2, vcc, s15, v2
	s_waitcnt vmcnt(19)
	v_lshrrev_b32_e32 v6, 16, v7
	v_mul_f16_sdwa v4, v72, v6 dst_sel:DWORD dst_unused:UNUSED_PAD src0_sel:WORD_1 src1_sel:DWORD
	v_mul_f16_sdwa v5, v72, v7 dst_sel:DWORD dst_unused:UNUSED_PAD src0_sel:WORD_1 src1_sel:DWORD
	v_fma_f16 v4, v72, v7, v4
	v_fma_f16 v5, v72, v6, -v5
	v_pack_b32_f16 v4, v4, v5
	ds_write_b32 v53, v4 offset:360
	s_waitcnt vmcnt(18)
	v_lshrrev_b32_e32 v4, 16, v11
	s_waitcnt vmcnt(17)
	v_mul_f16_sdwa v5, v70, v4 dst_sel:DWORD dst_unused:UNUSED_PAD src0_sel:WORD_1 src1_sel:DWORD
	v_mul_f16_sdwa v6, v70, v11 dst_sel:DWORD dst_unused:UNUSED_PAD src0_sel:WORD_1 src1_sel:DWORD
	v_fma_f16 v5, v70, v11, v5
	v_fma_f16 v4, v70, v4, -v6
	v_pack_b32_f16 v4, v5, v4
	ds_write_b32 v53, v4 offset:420
	global_load_dword v55, v37, s[0:1] offset:500
	global_load_dword v54, v37, s[0:1] offset:560
	;; [unrolled: 1-line block ×4, first 2 shown]
	s_waitcnt vmcnt(20)
	v_lshrrev_b32_e32 v4, 16, v12
	s_waitcnt vmcnt(19)
	v_mul_f16_sdwa v5, v68, v4 dst_sel:DWORD dst_unused:UNUSED_PAD src0_sel:WORD_1 src1_sel:DWORD
	v_mul_f16_sdwa v6, v68, v12 dst_sel:DWORD dst_unused:UNUSED_PAD src0_sel:WORD_1 src1_sel:DWORD
	v_fma_f16 v5, v68, v12, v5
	v_fma_f16 v4, v68, v4, -v6
	v_pack_b32_f16 v4, v5, v4
	ds_write_b32 v53, v4 offset:480
	s_waitcnt vmcnt(18)
	v_lshrrev_b32_e32 v4, 16, v13
	v_mov_b32_e32 v12, s14
	v_addc_co_u32_e32 v3, vcc, v3, v12, vcc
	s_waitcnt vmcnt(17)
	v_mul_f16_sdwa v5, v65, v4 dst_sel:DWORD dst_unused:UNUSED_PAD src0_sel:WORD_1 src1_sel:DWORD
	v_mul_f16_sdwa v6, v65, v13 dst_sel:DWORD dst_unused:UNUSED_PAD src0_sel:WORD_1 src1_sel:DWORD
	v_fma_f16 v5, v65, v13, v5
	v_fma_f16 v4, v65, v4, -v6
	v_pack_b32_f16 v4, v5, v4
	ds_write_b32 v53, v4 offset:540
	s_waitcnt vmcnt(16)
	v_lshrrev_b32_e32 v4, 16, v14
	v_mul_f16_sdwa v5, v64, v4 dst_sel:DWORD dst_unused:UNUSED_PAD src0_sel:WORD_1 src1_sel:DWORD
	v_mul_f16_sdwa v6, v64, v14 dst_sel:DWORD dst_unused:UNUSED_PAD src0_sel:WORD_1 src1_sel:DWORD
	v_fma_f16 v5, v64, v14, v5
	v_fma_f16 v4, v64, v4, -v6
	v_pack_b32_f16 v4, v5, v4
	ds_write2_b32 v53, v10, v4 offset1:5
	s_waitcnt vmcnt(15)
	v_lshrrev_b32_e32 v4, 16, v15
	v_mul_f16_sdwa v5, v63, v4 dst_sel:DWORD dst_unused:UNUSED_PAD src0_sel:WORD_1 src1_sel:DWORD
	v_mul_f16_sdwa v6, v63, v15 dst_sel:DWORD dst_unused:UNUSED_PAD src0_sel:WORD_1 src1_sel:DWORD
	v_fma_f16 v5, v63, v15, v5
	v_fma_f16 v4, v63, v4, -v6
	v_pack_b32_f16 v7, v5, v4
	s_waitcnt vmcnt(14)
	v_lshrrev_b32_e32 v4, 16, v18
	v_mul_f16_sdwa v5, v62, v4 dst_sel:DWORD dst_unused:UNUSED_PAD src0_sel:WORD_1 src1_sel:DWORD
	v_mul_f16_sdwa v6, v62, v18 dst_sel:DWORD dst_unused:UNUSED_PAD src0_sel:WORD_1 src1_sel:DWORD
	v_fma_f16 v5, v62, v18, v5
	v_fma_f16 v4, v62, v4, -v6
	v_pack_b32_f16 v10, v5, v4
	;; [unrolled: 7-line block ×4, first 2 shown]
	s_waitcnt vmcnt(11)
	v_lshrrev_b32_e32 v4, 16, v8
	s_waitcnt vmcnt(10)
	v_mul_f16_sdwa v5, v61, v4 dst_sel:DWORD dst_unused:UNUSED_PAD src0_sel:WORD_1 src1_sel:DWORD
	v_mul_f16_sdwa v6, v61, v8 dst_sel:DWORD dst_unused:UNUSED_PAD src0_sel:WORD_1 src1_sel:DWORD
	global_load_dword v12, v[2:3], off
	v_fma_f16 v5, v61, v8, v5
	v_fma_f16 v4, v61, v4, -v6
	v_pack_b32_f16 v8, v5, v4
	v_mov_b32_e32 v4, s14
	v_add_co_u32_e32 v2, vcc, s15, v2
	v_addc_co_u32_e32 v3, vcc, v3, v4, vcc
	global_load_dword v15, v[2:3], off
	v_add_co_u32_e32 v2, vcc, s15, v2
	v_addc_co_u32_e32 v3, vcc, v3, v4, vcc
	global_load_dword v18, v[2:3], off
	v_mad_u64_u32 v[2:3], s[18:19], s12, v52, v[2:3]
	v_mad_u64_u32 v[4:5], s[18:19], s12, v51, 0
	v_add_u32_e32 v3, s20, v3
	global_load_dword v19, v[2:3], off
	v_mad_u64_u32 v[5:6], s[12:13], s13, v51, v[5:6]
	v_mov_b32_e32 v20, s14
	v_add_co_u32_e32 v2, vcc, s15, v2
	v_addc_co_u32_e32 v3, vcc, v3, v20, vcc
	global_load_dword v6, v[2:3], off
	v_lshlrev_b64 v[4:5], 2, v[4:5]
	s_waitcnt vmcnt(14)
	v_lshrrev_b32_e32 v14, 16, v9
	v_add_co_u32_e32 v0, vcc, v0, v4
	v_addc_co_u32_e32 v1, vcc, v1, v5, vcc
	global_load_dword v4, v[0:1], off
	v_mov_b32_e32 v1, s16
	v_add_co_u32_e32 v0, vcc, s17, v2
	v_addc_co_u32_e32 v1, vcc, v3, v1, vcc
	global_load_dword v2, v[0:1], off
	s_waitcnt vmcnt(15)
	v_mul_f16_sdwa v5, v58, v14 dst_sel:DWORD dst_unused:UNUSED_PAD src0_sel:WORD_1 src1_sel:DWORD
	v_fma_f16 v3, v58, v9, v5
	v_mov_b32_e32 v5, s14
	v_add_co_u32_e32 v0, vcc, s15, v0
	v_addc_co_u32_e32 v1, vcc, v1, v5, vcc
	global_load_dword v5, v[0:1], off
	v_add_co_u32_e32 v0, vcc, s15, v0
	v_addc_co_u32_e32 v1, vcc, v1, v20, vcc
	global_load_dword v20, v[0:1], off
	v_mul_f16_sdwa v9, v58, v9 dst_sel:DWORD dst_unused:UNUSED_PAD src0_sel:WORD_1 src1_sel:DWORD
	v_fma_f16 v9, v58, v14, -v9
	v_mov_b32_e32 v14, s14
	v_add_co_u32_e32 v0, vcc, s15, v0
	v_addc_co_u32_e32 v1, vcc, v1, v14, vcc
	global_load_dword v14, v[0:1], off
	v_pack_b32_f16 v3, v3, v9
	v_mov_b32_e32 v9, s14
	v_add_co_u32_e32 v0, vcc, s15, v0
	v_addc_co_u32_e32 v1, vcc, v1, v9, vcc
	global_load_dword v9, v[0:1], off
	v_add_co_u32_e32 v0, vcc, s15, v0
	v_addc_co_u32_e32 v1, vcc, v1, v22, vcc
	global_load_dword v22, v[0:1], off
	;; [unrolled: 3-line block ×3, first 2 shown]
	s_waitcnt vmcnt(12)
	v_lshrrev_b32_e32 v21, 16, v12
	v_mul_f16_sdwa v23, v56, v21 dst_sel:DWORD dst_unused:UNUSED_PAD src0_sel:WORD_1 src1_sel:DWORD
	v_fma_f16 v1, v56, v12, v23
	v_mul_f16_sdwa v12, v56, v12 dst_sel:DWORD dst_unused:UNUSED_PAD src0_sel:WORD_1 src1_sel:DWORD
	v_fma_f16 v12, v56, v21, -v12
	v_pack_b32_f16 v1, v1, v12
	s_movk_i32 s12, 0x3b9c
	s_mov_b32 s16, 0xbb9c
	s_movk_i32 s13, 0x38b4
	s_waitcnt vmcnt(11)
	v_lshrrev_b32_e32 v12, 16, v15
	v_mul_f16_sdwa v21, v55, v12 dst_sel:DWORD dst_unused:UNUSED_PAD src0_sel:WORD_1 src1_sel:DWORD
	v_fma_f16 v21, v55, v15, v21
	v_mul_f16_sdwa v15, v55, v15 dst_sel:DWORD dst_unused:UNUSED_PAD src0_sel:WORD_1 src1_sel:DWORD
	v_fma_f16 v12, v55, v12, -v15
	s_waitcnt vmcnt(10)
	v_lshrrev_b32_e32 v15, 16, v18
	v_pack_b32_f16 v12, v21, v12
	v_mul_f16_sdwa v21, v54, v15 dst_sel:DWORD dst_unused:UNUSED_PAD src0_sel:WORD_1 src1_sel:DWORD
	v_fma_f16 v21, v54, v18, v21
	v_mul_f16_sdwa v18, v54, v18 dst_sel:DWORD dst_unused:UNUSED_PAD src0_sel:WORD_1 src1_sel:DWORD
	v_fma_f16 v15, v54, v15, -v18
	s_waitcnt vmcnt(9)
	v_lshrrev_b32_e32 v18, 16, v19
	v_pack_b32_f16 v15, v21, v15
	v_mul_f16_sdwa v21, v50, v18 dst_sel:DWORD dst_unused:UNUSED_PAD src0_sel:WORD_1 src1_sel:DWORD
	v_fma_f16 v21, v50, v19, v21
	v_mul_f16_sdwa v19, v50, v19 dst_sel:DWORD dst_unused:UNUSED_PAD src0_sel:WORD_1 src1_sel:DWORD
	v_fma_f16 v18, v50, v18, -v19
	v_pack_b32_f16 v18, v21, v18
	ds_write_b32 v53, v18 offset:40
	s_waitcnt vmcnt(8)
	v_lshrrev_b32_e32 v18, 16, v6
	v_mul_f16_sdwa v19, v49, v18 dst_sel:DWORD dst_unused:UNUSED_PAD src0_sel:WORD_1 src1_sel:DWORD
	v_fma_f16 v19, v49, v6, v19
	v_mul_f16_sdwa v6, v49, v6 dst_sel:DWORD dst_unused:UNUSED_PAD src0_sel:WORD_1 src1_sel:DWORD
	v_fma_f16 v6, v49, v18, -v6
	v_pack_b32_f16 v6, v19, v6
	ds_write2_b32 v53, v7, v6 offset0:20 offset1:25
	s_waitcnt vmcnt(7)
	v_lshrrev_b32_e32 v6, 16, v4
	v_mul_f16_sdwa v7, v48, v6 dst_sel:DWORD dst_unused:UNUSED_PAD src0_sel:WORD_1 src1_sel:DWORD
	v_fma_f16 v7, v48, v4, v7
	v_mul_f16_sdwa v4, v48, v4 dst_sel:DWORD dst_unused:UNUSED_PAD src0_sel:WORD_1 src1_sel:DWORD
	v_fma_f16 v4, v48, v6, -v4
	v_pack_b32_f16 v4, v7, v4
	ds_write2_b32 v53, v10, v4 offset0:35 offset1:40
	;; [unrolled: 8-line block ×4, first 2 shown]
	s_waitcnt vmcnt(4)
	v_lshrrev_b32_e32 v2, 16, v20
	v_mul_f16_sdwa v4, v46, v2 dst_sel:DWORD dst_unused:UNUSED_PAD src0_sel:WORD_1 src1_sel:DWORD
	v_mul_f16_sdwa v5, v46, v20 dst_sel:DWORD dst_unused:UNUSED_PAD src0_sel:WORD_1 src1_sel:DWORD
	v_fma_f16 v4, v46, v20, v4
	v_fma_f16 v2, v46, v2, -v5
	v_pack_b32_f16 v2, v4, v2
	ds_write2_b32 v53, v8, v2 offset0:80 offset1:85
	s_waitcnt vmcnt(3)
	v_lshrrev_b32_e32 v2, 16, v14
	v_mul_f16_sdwa v4, v44, v2 dst_sel:DWORD dst_unused:UNUSED_PAD src0_sel:WORD_1 src1_sel:DWORD
	v_mul_f16_sdwa v5, v44, v14 dst_sel:DWORD dst_unused:UNUSED_PAD src0_sel:WORD_1 src1_sel:DWORD
	v_fma_f16 v4, v44, v14, v4
	v_fma_f16 v2, v44, v2, -v5
	v_pack_b32_f16 v2, v4, v2
	ds_write2_b32 v53, v3, v2 offset0:95 offset1:100
	;; [unrolled: 8-line block ×4, first 2 shown]
	s_waitcnt vmcnt(0)
	v_lshrrev_b32_e32 v1, 16, v0
	v_mul_f16_sdwa v2, v41, v1 dst_sel:DWORD dst_unused:UNUSED_PAD src0_sel:WORD_1 src1_sel:DWORD
	v_fma_f16 v2, v41, v0, v2
	v_mul_f16_sdwa v0, v41, v0 dst_sel:DWORD dst_unused:UNUSED_PAD src0_sel:WORD_1 src1_sel:DWORD
	v_fma_f16 v0, v41, v1, -v0
	v_pack_b32_f16 v0, v2, v0
	ds_write2_b32 v53, v15, v0 offset0:140 offset1:145
	s_waitcnt lgkmcnt(0)
	; wave barrier
	s_waitcnt lgkmcnt(0)
	ds_read2_b32 v[4:5], v53 offset0:30 offset1:35
	ds_read2_b32 v[8:9], v53 offset0:60 offset1:65
	;; [unrolled: 1-line block ×4, first 2 shown]
	ds_read2_b32 v[2:3], v53 offset1:5
	ds_read2_b32 v[0:1], v53 offset0:10 offset1:15
	s_mov_b32 s15, 0xb8b4
	s_waitcnt lgkmcnt(3)
	v_sub_f16_sdwa v35, v8, v6 dst_sel:DWORD dst_unused:UNUSED_PAD src0_sel:WORD_1 src1_sel:WORD_1
	s_waitcnt lgkmcnt(2)
	v_add_f16_e32 v22, v4, v10
	s_waitcnt lgkmcnt(1)
	v_fma_f16 v22, v22, -0.5, v2
	v_sub_f16_sdwa v34, v4, v10 dst_sel:DWORD dst_unused:UNUSED_PAD src0_sel:WORD_1 src1_sel:WORD_1
	v_fma_f16 v23, v35, s16, v22
	v_sub_f16_e32 v24, v6, v10
	v_sub_f16_e32 v25, v8, v4
	v_fma_f16 v22, v35, s12, v22
	s_movk_i32 s14, 0x34f2
	ds_read2_b32 v[12:13], v53 offset0:40 offset1:45
	ds_read2_b32 v[14:15], v53 offset0:70 offset1:75
	;; [unrolled: 1-line block ×4, first 2 shown]
	v_fma_f16 v23, v34, s13, v23
	v_add_f16_e32 v24, v25, v24
	v_fma_f16 v22, v34, s15, v22
	v_fma_f16 v36, v24, s14, v23
	;; [unrolled: 1-line block ×3, first 2 shown]
	v_lshrrev_b32_e32 v24, 16, v2
	v_add_f16_sdwa v22, v4, v10 dst_sel:DWORD dst_unused:UNUSED_PAD src0_sel:WORD_1 src1_sel:WORD_1
	v_sub_f16_e32 v40, v8, v6
	v_fma_f16 v22, v22, -0.5, v24
	v_sub_f16_e32 v39, v4, v10
	v_fma_f16 v23, v40, s12, v22
	v_sub_f16_sdwa v25, v8, v4 dst_sel:DWORD dst_unused:UNUSED_PAD src0_sel:WORD_1 src1_sel:WORD_1
	v_sub_f16_sdwa v26, v6, v10 dst_sel:DWORD dst_unused:UNUSED_PAD src0_sel:WORD_1 src1_sel:WORD_1
	v_fma_f16 v22, v40, s16, v22
	v_add_f16_e32 v25, v25, v26
	v_fma_f16 v22, v39, s13, v22
	v_fma_f16 v79, v25, s14, v22
	s_waitcnt lgkmcnt(0)
	v_add_f16_e32 v22, v13, v21
	v_fma_f16 v23, v39, s15, v23
	v_sub_f16_sdwa v81, v15, v19 dst_sel:DWORD dst_unused:UNUSED_PAD src0_sel:WORD_1 src1_sel:WORD_1
	v_fma_f16 v22, v22, -0.5, v1
	v_fma_f16 v78, v25, s14, v23
	v_sub_f16_sdwa v80, v13, v21 dst_sel:DWORD dst_unused:UNUSED_PAD src0_sel:WORD_1 src1_sel:WORD_1
	v_fma_f16 v23, v81, s16, v22
	v_sub_f16_e32 v25, v19, v21
	v_sub_f16_e32 v26, v15, v13
	v_fma_f16 v22, v81, s12, v22
	v_fma_f16 v23, v80, s13, v23
	v_add_f16_e32 v25, v26, v25
	v_fma_f16 v22, v80, s15, v22
	v_fma_f16 v23, v25, s14, v23
	;; [unrolled: 1-line block ×3, first 2 shown]
	v_lshrrev_b32_e32 v25, 16, v1
	v_add_f16_sdwa v26, v13, v21 dst_sel:DWORD dst_unused:UNUSED_PAD src0_sel:WORD_1 src1_sel:WORD_1
	v_sub_f16_e32 v83, v15, v19
	v_fma_f16 v26, v26, -0.5, v25
	v_sub_f16_e32 v82, v13, v21
	v_fma_f16 v27, v83, s12, v26
	v_sub_f16_sdwa v28, v15, v13 dst_sel:DWORD dst_unused:UNUSED_PAD src0_sel:WORD_1 src1_sel:WORD_1
	v_sub_f16_sdwa v29, v19, v21 dst_sel:DWORD dst_unused:UNUSED_PAD src0_sel:WORD_1 src1_sel:WORD_1
	v_fma_f16 v27, v82, s15, v27
	v_add_f16_e32 v28, v28, v29
	v_fma_f16 v26, v83, s16, v26
	v_fma_f16 v27, v28, s14, v27
	;; [unrolled: 1-line block ×4, first 2 shown]
	v_mul_f16_e32 v28, 0x3b9c, v27
	v_fma_f16 v84, v23, s14, v28
	v_mul_f16_e32 v28, 0xb4f2, v22
	v_fma_f16 v85, v26, s12, v28
	v_mul_f16_e32 v26, 0xb4f2, v26
	v_mul_f16_e32 v23, 0xbb9c, v23
	v_fma_f16 v87, v22, s16, v26
	v_fma_f16 v86, v27, s14, v23
	v_add_f16_e32 v23, v38, v85
	v_add_f16_e32 v22, v79, v87
	v_pack_b32_f16 v23, v23, v22
	v_add_f16_e32 v22, v36, v84
	v_add_f16_e32 v26, v78, v86
	v_pack_b32_f16 v22, v22, v26
	v_sub_f16_e32 v26, v10, v6
	v_sub_f16_e32 v27, v4, v8
	v_add_f16_e32 v88, v27, v26
	v_add_f16_sdwa v26, v8, v6 dst_sel:DWORD dst_unused:UNUSED_PAD src0_sel:WORD_1 src1_sel:WORD_1
	v_fma_f16 v89, v26, -0.5, v24
	v_sub_f16_sdwa v24, v4, v8 dst_sel:DWORD dst_unused:UNUSED_PAD src0_sel:WORD_1 src1_sel:WORD_1
	v_sub_f16_sdwa v26, v10, v6 dst_sel:DWORD dst_unused:UNUSED_PAD src0_sel:WORD_1 src1_sel:WORD_1
	v_add_f16_e32 v90, v24, v26
	v_sub_f16_e32 v24, v21, v19
	v_sub_f16_e32 v26, v13, v15
	v_add_f16_e32 v91, v26, v24
	v_add_f16_sdwa v24, v15, v19 dst_sel:DWORD dst_unused:UNUSED_PAD src0_sel:WORD_1 src1_sel:WORD_1
	v_fma_f16 v92, v24, -0.5, v25
	v_sub_f16_sdwa v24, v13, v15 dst_sel:DWORD dst_unused:UNUSED_PAD src0_sel:WORD_1 src1_sel:WORD_1
	v_sub_f16_sdwa v25, v21, v19 dst_sel:DWORD dst_unused:UNUSED_PAD src0_sel:WORD_1 src1_sel:WORD_1
	v_add_f16_e32 v93, v24, v25
	v_add_f16_e32 v24, v15, v19
	v_fma_f16 v94, v24, -0.5, v1
	v_fma_f16 v24, v80, s12, v94
	v_fma_f16 v24, v81, s13, v24
	;; [unrolled: 1-line block ×5, first 2 shown]
	s_movk_i32 s17, 0x3a79
	v_fma_f16 v25, v93, s14, v25
	v_mul_f16_e32 v26, 0x3a79, v24
	v_mul_f16_e32 v24, 0xb8b4, v24
	v_fma_f16 v96, v25, s17, v24
	v_mul_lo_u16_e32 v24, 10, v75
	v_lshl_add_u32 v77, v24, 2, v17
	v_add_f16_e32 v24, v8, v6
	v_fma_f16 v97, v24, -0.5, v2
	v_pk_add_f16 v2, v2, v4
	v_pk_add_f16 v2, v2, v8
	;; [unrolled: 1-line block ×3, first 2 shown]
	v_fma_f16 v24, v34, s12, v97
	v_pk_add_f16 v4, v2, v10
	v_fma_f16 v2, v39, s16, v89
	v_pk_add_f16 v1, v1, v13
	v_fma_f16 v24, v35, s13, v24
	v_fma_f16 v2, v40, s15, v2
	v_pk_add_f16 v1, v1, v15
	v_fma_f16 v95, v25, s13, v26
	v_fma_f16 v98, v88, s14, v24
	;; [unrolled: 1-line block ×3, first 2 shown]
	v_pk_add_f16 v1, v1, v19
	v_pk_add_f16 v8, v1, v21
	v_add_f16_e32 v1, v98, v95
	v_add_f16_e32 v2, v6, v96
	v_fma_f16 v13, v80, s16, v94
	v_pack_b32_f16 v2, v1, v2
	v_pk_add_f16 v1, v4, v8
	v_fma_f16 v13, v81, s15, v13
	v_fma_f16 v15, v82, s12, v92
	ds_read2_b32 v[24:25], v53 offset0:20 offset1:25
	ds_read2_b32 v[26:27], v53 offset0:50 offset1:55
	;; [unrolled: 1-line block ×5, first 2 shown]
	s_waitcnt lgkmcnt(0)
	; wave barrier
	s_waitcnt lgkmcnt(0)
	ds_write2_b64 v77, v[1:2], v[22:23] offset1:1
	v_sub_f16_e32 v1, v98, v95
	v_sub_f16_e32 v2, v36, v84
	;; [unrolled: 1-line block ×4, first 2 shown]
	v_fma_f16 v13, v91, s14, v13
	v_fma_f16 v15, v83, s13, v15
	v_pack_b32_f16 v1, v1, v6
	v_pack_b32_f16 v2, v2, v10
	v_fma_f16 v6, v34, s16, v97
	v_fma_f16 v10, v39, s12, v89
	;; [unrolled: 1-line block ×3, first 2 shown]
	v_mul_f16_e32 v19, 0xba79, v13
	v_fma_f16 v6, v35, s15, v6
	v_fma_f16 v10, v40, s13, v10
	;; [unrolled: 1-line block ×3, first 2 shown]
	v_mul_f16_e32 v15, 0xba79, v15
	v_fma_f16 v6, v88, s14, v6
	v_fma_f16 v10, v90, s14, v10
	v_fma_f16 v13, v13, s15, v15
	v_pk_add_f16 v22, v4, v8 neg_lo:[0,1] neg_hi:[0,1]
	v_add_f16_e32 v4, v6, v19
	v_add_f16_e32 v8, v10, v13
	v_pack_b32_f16 v21, v4, v8
	ds_write2_b64 v77, v[21:22], v[1:2] offset0:2 offset1:3
	v_pk_add_f16 v1, v3, v5
	v_pk_add_f16 v1, v1, v9
	;; [unrolled: 1-line block ×3, first 2 shown]
	v_add_f16_e32 v4, v9, v7
	v_sub_f16_sdwa v8, v9, v7 dst_sel:DWORD dst_unused:UNUSED_PAD src0_sel:WORD_1 src1_sel:WORD_1
	v_sub_f16_e32 v15, v5, v9
	v_sub_f16_e32 v21, v9, v5
	v_add_f16_sdwa v22, v9, v7 dst_sel:DWORD dst_unused:UNUSED_PAD src0_sel:WORD_1 src1_sel:WORD_1
	v_sub_f16_e32 v23, v9, v7
	v_sub_f16_sdwa v34, v5, v9 dst_sel:DWORD dst_unused:UNUSED_PAD src0_sel:WORD_1 src1_sel:WORD_1
	v_sub_f16_sdwa v9, v9, v5 dst_sel:DWORD dst_unused:UNUSED_PAD src0_sel:WORD_1 src1_sel:WORD_1
	;; [unrolled: 1-line block ×3, first 2 shown]
	v_add_f16_e32 v36, v5, v11
	v_sub_f16_e32 v39, v5, v11
	v_add_f16_sdwa v5, v5, v11 dst_sel:DWORD dst_unused:UNUSED_PAD src0_sel:WORD_1 src1_sel:WORD_1
	v_sub_f16_e32 v40, v11, v7
	v_sub_f16_e32 v78, v7, v11
	v_sub_f16_sdwa v80, v11, v7 dst_sel:DWORD dst_unused:UNUSED_PAD src0_sel:WORD_1 src1_sel:WORD_1
	v_sub_f16_sdwa v7, v7, v11 dst_sel:DWORD dst_unused:UNUSED_PAD src0_sel:WORD_1 src1_sel:WORD_1
	v_pk_add_f16 v11, v1, v11
	v_pk_add_f16 v1, v0, v12
	;; [unrolled: 1-line block ×4, first 2 shown]
	v_add_f16_e32 v81, v14, v18
	v_sub_f16_sdwa v82, v14, v18 dst_sel:DWORD dst_unused:UNUSED_PAD src0_sel:WORD_1 src1_sel:WORD_1
	v_sub_f16_e32 v83, v12, v14
	v_sub_f16_e32 v84, v14, v12
	v_add_f16_sdwa v86, v14, v18 dst_sel:DWORD dst_unused:UNUSED_PAD src0_sel:WORD_1 src1_sel:WORD_1
	v_sub_f16_e32 v88, v14, v18
	v_sub_f16_sdwa v89, v12, v14 dst_sel:DWORD dst_unused:UNUSED_PAD src0_sel:WORD_1 src1_sel:WORD_1
	v_sub_f16_sdwa v14, v14, v12 dst_sel:DWORD dst_unused:UNUSED_PAD src0_sel:WORD_1 src1_sel:WORD_1
	;; [unrolled: 1-line block ×3, first 2 shown]
	v_add_f16_e32 v91, v12, v20
	v_sub_f16_e32 v92, v12, v20
	v_add_f16_sdwa v12, v12, v20 dst_sel:DWORD dst_unused:UNUSED_PAD src0_sel:WORD_1 src1_sel:WORD_1
	v_sub_f16_e32 v93, v20, v18
	v_sub_f16_e32 v94, v18, v20
	v_sub_f16_sdwa v95, v20, v18 dst_sel:DWORD dst_unused:UNUSED_PAD src0_sel:WORD_1 src1_sel:WORD_1
	v_sub_f16_sdwa v18, v18, v20 dst_sel:DWORD dst_unused:UNUSED_PAD src0_sel:WORD_1 src1_sel:WORD_1
	v_pk_add_f16 v20, v1, v20
	v_pk_add_f16 v1, v24, v26
	;; [unrolled: 1-line block ×7, first 2 shown]
	v_add_f16_e32 v96, v28, v30
	v_sub_f16_sdwa v97, v28, v30 dst_sel:DWORD dst_unused:UNUSED_PAD src0_sel:WORD_1 src1_sel:WORD_1
	v_sub_f16_e32 v98, v26, v28
	v_sub_f16_e32 v99, v28, v26
	v_add_f16_sdwa v100, v28, v30 dst_sel:DWORD dst_unused:UNUSED_PAD src0_sel:WORD_1 src1_sel:WORD_1
	v_sub_f16_e32 v101, v28, v30
	v_sub_f16_sdwa v102, v26, v28 dst_sel:DWORD dst_unused:UNUSED_PAD src0_sel:WORD_1 src1_sel:WORD_1
	v_sub_f16_sdwa v28, v28, v26 dst_sel:DWORD dst_unused:UNUSED_PAD src0_sel:WORD_1 src1_sel:WORD_1
	v_add_f16_e32 v103, v29, v31
	v_sub_f16_sdwa v104, v29, v31 dst_sel:DWORD dst_unused:UNUSED_PAD src0_sel:WORD_1 src1_sel:WORD_1
	v_sub_f16_e32 v105, v27, v29
	v_sub_f16_e32 v106, v29, v27
	v_add_f16_sdwa v107, v29, v31 dst_sel:DWORD dst_unused:UNUSED_PAD src0_sel:WORD_1 src1_sel:WORD_1
	v_sub_f16_e32 v108, v29, v31
	v_sub_f16_sdwa v109, v27, v29 dst_sel:DWORD dst_unused:UNUSED_PAD src0_sel:WORD_1 src1_sel:WORD_1
	v_sub_f16_sdwa v29, v29, v27 dst_sel:DWORD dst_unused:UNUSED_PAD src0_sel:WORD_1 src1_sel:WORD_1
	;; [unrolled: 1-line block ×3, first 2 shown]
	v_add_f16_e32 v111, v26, v32
	v_sub_f16_e32 v112, v26, v32
	v_add_f16_sdwa v26, v26, v32 dst_sel:DWORD dst_unused:UNUSED_PAD src0_sel:WORD_1 src1_sel:WORD_1
	v_sub_f16_sdwa v113, v27, v33 dst_sel:DWORD dst_unused:UNUSED_PAD src0_sel:WORD_1 src1_sel:WORD_1
	v_add_f16_e32 v114, v27, v33
	v_sub_f16_e32 v115, v27, v33
	v_add_f16_sdwa v27, v27, v33 dst_sel:DWORD dst_unused:UNUSED_PAD src0_sel:WORD_1 src1_sel:WORD_1
	v_sub_f16_e32 v116, v32, v30
	v_sub_f16_e32 v117, v30, v32
	v_sub_f16_sdwa v118, v32, v30 dst_sel:DWORD dst_unused:UNUSED_PAD src0_sel:WORD_1 src1_sel:WORD_1
	v_sub_f16_sdwa v30, v30, v32 dst_sel:DWORD dst_unused:UNUSED_PAD src0_sel:WORD_1 src1_sel:WORD_1
	v_sub_f16_e32 v119, v33, v31
	v_sub_f16_e32 v120, v31, v33
	v_sub_f16_sdwa v121, v33, v31 dst_sel:DWORD dst_unused:UNUSED_PAD src0_sel:WORD_1 src1_sel:WORD_1
	v_sub_f16_sdwa v31, v31, v33 dst_sel:DWORD dst_unused:UNUSED_PAD src0_sel:WORD_1 src1_sel:WORD_1
	v_pk_add_f16 v32, v1, v32
	v_pk_add_f16 v33, v2, v33
	v_sub_f16_e32 v1, v38, v85
	v_sub_f16_e32 v2, v6, v19
	;; [unrolled: 1-line block ×4, first 2 shown]
	v_pack_b32_f16 v2, v2, v10
	v_pack_b32_f16 v1, v1, v6
	ds_write_b64 v77, v[1:2] offset:32
	v_fma_f16 v2, v36, -0.5, v3
	v_fma_f16 v6, v8, s16, v2
	v_fma_f16 v2, v8, s12, v2
	v_add_f16_e32 v1, v21, v78
	v_fma_f16 v2, v35, s15, v2
	v_fma_f16 v4, v4, -0.5, v3
	v_lshrrev_b32_e32 v3, 16, v3
	v_fma_f16 v10, v1, s14, v2
	v_fma_f16 v2, v5, -0.5, v3
	v_fma_f16 v6, v35, s13, v6
	v_fma_f16 v5, v23, s12, v2
	;; [unrolled: 1-line block ×4, first 2 shown]
	v_add_f16_e32 v1, v9, v7
	v_fma_f16 v2, v39, s13, v2
	v_fma_f16 v7, v1, s14, v2
	v_fma_f16 v2, v111, -0.5, v24
	v_lshrrev_b32_e32 v13, 16, v24
	v_fma_f16 v5, v39, s15, v5
	v_fma_f16 v9, v97, s16, v2
	;; [unrolled: 1-line block ×3, first 2 shown]
	v_fma_f16 v19, v26, -0.5, v13
	v_fma_f16 v5, v1, s14, v5
	v_add_f16_e32 v1, v99, v117
	v_fma_f16 v9, v110, s13, v9
	v_fma_f16 v2, v110, s15, v2
	;; [unrolled: 1-line block ×5, first 2 shown]
	v_add_f16_e32 v2, v28, v30
	v_fma_f16 v21, v112, s15, v21
	v_fma_f16 v19, v101, s16, v19
	;; [unrolled: 1-line block ×5, first 2 shown]
	v_mul_f16_e32 v19, 0x3b9c, v21
	v_fma_f16 v19, v9, s14, v19
	v_mul_f16_e32 v9, 0xbb9c, v9
	v_fma_f16 v9, v21, s14, v9
	;; [unrolled: 2-line block ×4, first 2 shown]
	v_add_f16_e32 v1, v10, v21
	v_add_f16_e32 v2, v7, v26
	v_pack_b32_f16 v2, v1, v2
	v_add_f16_e32 v1, v6, v19
	v_add_f16_e32 v28, v5, v9
	v_fma_f16 v3, v22, -0.5, v3
	v_pack_b32_f16 v1, v1, v28
	v_fma_f16 v28, v35, s12, v4
	v_fma_f16 v4, v35, s16, v4
	;; [unrolled: 1-line block ×4, first 2 shown]
	v_add_f16_e32 v15, v15, v40
	v_fma_f16 v28, v8, s13, v28
	v_fma_f16 v4, v8, s15, v4
	v_fma_f16 v22, v23, s15, v22
	v_fma_f16 v3, v23, s13, v3
	v_fma_f16 v23, v96, -0.5, v24
	v_fma_f16 v8, v15, s14, v28
	v_fma_f16 v4, v15, s14, v4
	v_add_f16_e32 v15, v34, v80
	v_fma_f16 v24, v110, s12, v23
	v_fma_f16 v23, v110, s16, v23
	v_fma_f16 v13, v100, -0.5, v13
	v_fma_f16 v22, v15, s14, v22
	v_fma_f16 v3, v15, s14, v3
	v_add_f16_e32 v15, v98, v116
	v_fma_f16 v24, v97, s13, v24
	v_fma_f16 v23, v97, s15, v23
	;; [unrolled: 1-line block ×6, first 2 shown]
	v_add_f16_e32 v23, v102, v118
	v_fma_f16 v28, v101, s15, v28
	v_fma_f16 v13, v101, s13, v13
	;; [unrolled: 1-line block ×4, first 2 shown]
	v_mul_f16_e32 v23, 0x3a79, v24
	v_mul_f16_e32 v24, 0xb8b4, v24
	v_fma_f16 v23, v28, s13, v23
	v_fma_f16 v24, v28, s17, v24
	v_mul_f16_e32 v28, 0xba79, v15
	v_fma_f16 v28, v13, s13, v28
	v_mul_f16_e32 v13, 0xba79, v13
	v_sub_f16_e32 v9, v5, v9
	v_fma_f16 v5, v81, -0.5, v0
	v_fma_f16 v13, v15, s15, v13
	v_sub_f16_e32 v10, v10, v21
	v_fma_f16 v21, v90, s12, v5
	v_fma_f16 v5, v90, s16, v5
	v_add_f16_e32 v15, v8, v23
	v_sub_f16_e32 v8, v8, v23
	v_sub_f16_e32 v6, v6, v19
	v_add_f16_e32 v19, v4, v28
	v_sub_f16_e32 v23, v4, v28
	v_add_f16_e32 v4, v22, v24
	v_sub_f16_e32 v22, v22, v24
	v_add_f16_e32 v24, v3, v13
	v_sub_f16_e32 v13, v3, v13
	v_add_f16_e32 v3, v83, v93
	v_fma_f16 v5, v82, s15, v5
	v_fma_f16 v21, v82, s13, v21
	;; [unrolled: 1-line block ×3, first 2 shown]
	v_fma_f16 v5, v91, -0.5, v0
	v_sub_f16_e32 v7, v7, v26
	v_fma_f16 v26, v3, s14, v21
	v_fma_f16 v21, v82, s16, v5
	;; [unrolled: 1-line block ×3, first 2 shown]
	v_add_f16_e32 v3, v84, v94
	v_fma_f16 v5, v90, s15, v5
	v_lshrrev_b32_e32 v0, 16, v0
	v_fma_f16 v21, v90, s13, v21
	v_fma_f16 v34, v3, s14, v5
	v_fma_f16 v5, v86, -0.5, v0
	v_fma_f16 v30, v3, s14, v21
	v_fma_f16 v21, v92, s16, v5
	v_fma_f16 v5, v92, s12, v5
	v_add_f16_e32 v3, v89, v95
	v_fma_f16 v5, v88, s13, v5
	v_fma_f16 v0, v12, -0.5, v0
	v_fma_f16 v21, v88, s15, v21
	v_fma_f16 v36, v3, s14, v5
	;; [unrolled: 1-line block ×5, first 2 shown]
	v_add_f16_e32 v3, v14, v18
	v_fma_f16 v5, v92, s15, v5
	v_fma_f16 v0, v92, s13, v0
	;; [unrolled: 1-line block ×4, first 2 shown]
	v_fma_f16 v3, v103, -0.5, v25
	v_fma_f16 v5, v113, s12, v3
	v_add_f16_e32 v0, v105, v119
	v_fma_f16 v5, v104, s13, v5
	v_fma_f16 v38, v0, s14, v5
	;; [unrolled: 1-line block ×3, first 2 shown]
	v_fma_f16 v5, v114, -0.5, v25
	v_fma_f16 v3, v104, s15, v3
	v_fma_f16 v18, v104, s16, v5
	;; [unrolled: 1-line block ×4, first 2 shown]
	v_add_f16_e32 v3, v106, v120
	v_fma_f16 v18, v113, s13, v18
	v_fma_f16 v5, v113, s15, v5
	;; [unrolled: 1-line block ×4, first 2 shown]
	v_lshrrev_b32_e32 v3, 16, v25
	v_fma_f16 v5, v107, -0.5, v3
	v_fma_f16 v21, v115, s16, v5
	v_fma_f16 v5, v115, s12, v5
	v_add_f16_e32 v18, v109, v121
	v_fma_f16 v21, v108, s15, v21
	v_fma_f16 v5, v108, s13, v5
	;; [unrolled: 1-line block ×4, first 2 shown]
	v_add_u32_e32 v18, 5, v75
	v_fma_f16 v3, v27, -0.5, v3
	v_add_f16_e32 v27, v29, v31
	v_fma_f16 v29, v108, s12, v3
	v_fma_f16 v31, v108, s16, v3
	v_mul_u32_u24_e32 v3, 10, v18
	v_lshl_add_u32 v81, v3, 2, v17
	v_pk_add_f16 v3, v11, v32
	v_pk_add_f16 v5, v11, v32 neg_lo:[0,1] neg_hi:[0,1]
	v_fma_f16 v11, v115, s15, v29
	v_pack_b32_f16 v4, v15, v4
	v_fma_f16 v15, v115, s13, v31
	v_fma_f16 v11, v27, s14, v11
	v_add_u32_e32 v21, 10, v75
	v_fma_f16 v15, v27, s14, v15
	v_mul_f16_e32 v27, 0x3a79, v38
	ds_write2_b64 v81, v[3:4], v[1:2] offset1:1
	v_mul_f16_e32 v1, 0x3b9c, v11
	v_mul_f16_e32 v2, 0xb4f2, v40
	;; [unrolled: 1-line block ×4, first 2 shown]
	v_mul_u32_u24_e32 v29, 10, v21
	v_fma_f16 v27, v25, s13, v27
	v_fma_f16 v1, v39, s14, v1
	;; [unrolled: 1-line block ×5, first 2 shown]
	v_mul_f16_e32 v31, 0xba79, v0
	v_mul_f16_e32 v15, 0xb4f2, v15
	v_lshl_add_u32 v79, v29, 2, v17
	v_add_f16_e32 v3, v26, v27
	v_add_f16_e32 v29, v30, v1
	;; [unrolled: 1-line block ×3, first 2 shown]
	v_fma_f16 v31, v78, s13, v31
	v_fma_f16 v15, v40, s16, v15
	v_mul_f16_e32 v38, 0xba79, v78
	v_sub_f16_e32 v26, v26, v27
	v_sub_f16_e32 v27, v30, v1
	v_add_f16_e32 v30, v35, v4
	v_sub_f16_e32 v34, v34, v2
	v_sub_f16_e32 v35, v35, v4
	v_pack_b32_f16 v1, v8, v22
	v_pack_b32_f16 v2, v6, v9
	;; [unrolled: 1-line block ×3, first 2 shown]
	v_add_f16_e32 v32, v28, v31
	v_fma_f16 v38, v0, s15, v38
	v_add_f16_e32 v39, v12, v11
	v_sub_f16_e32 v28, v28, v31
	v_add_f16_e32 v31, v14, v15
	ds_write2_b64 v81, v[4:5], v[1:2] offset0:2 offset1:3
	v_pack_b32_f16 v2, v23, v13
	v_pack_b32_f16 v1, v10, v7
	v_pk_add_f16 v0, v20, v33
	v_add_f16_e32 v40, v36, v38
	v_sub_f16_e32 v11, v12, v11
	ds_write_b64 v81, v[1:2] offset:32
	v_pack_b32_f16 v1, v3, v30
	v_pack_b32_f16 v3, v25, v31
	;; [unrolled: 1-line block ×3, first 2 shown]
	v_sub_f16_e32 v12, v14, v15
	v_sub_f16_e32 v14, v36, v38
	ds_write2_b64 v79, v[0:1], v[2:3] offset1:1
	v_pk_add_f16 v1, v20, v33 neg_lo:[0,1] neg_hi:[0,1]
	v_pack_b32_f16 v2, v26, v35
	v_pack_b32_f16 v3, v27, v11
	;; [unrolled: 1-line block ×3, first 2 shown]
	ds_write2_b64 v79, v[0:1], v[2:3] offset0:2 offset1:3
	v_pack_b32_f16 v1, v28, v14
	v_pack_b32_f16 v0, v34, v12
	ds_write_b64 v79, v[0:1] offset:32
	v_lshlrev_b32_e32 v0, 4, v75
	s_waitcnt lgkmcnt(0)
	; wave barrier
	s_waitcnt lgkmcnt(0)
	global_load_dwordx4 v[4:7], v0, s[2:3]
	v_lshlrev_b32_e32 v0, 4, v18
	global_load_dwordx4 v[0:3], v0, s[2:3]
	ds_read2_b32 v[8:9], v53 offset1:5
	ds_read2_b32 v[10:11], v53 offset0:30 offset1:35
	ds_read2_b32 v[12:13], v53 offset0:60 offset1:65
	;; [unrolled: 1-line block ×4, first 2 shown]
	v_add_co_u32_e32 v25, vcc, 20, v75
	s_waitcnt lgkmcnt(3)
	v_lshrrev_b32_e32 v19, 16, v10
	s_waitcnt lgkmcnt(2)
	v_lshrrev_b32_e32 v26, 16, v12
	;; [unrolled: 2-line block ×4, first 2 shown]
	v_lshrrev_b32_e32 v34, 16, v11
	v_lshrrev_b32_e32 v38, 16, v13
	;; [unrolled: 1-line block ×4, first 2 shown]
	s_movk_i32 s18, 0xcd
	v_lshrrev_b32_e32 v22, 16, v8
	v_lshrrev_b32_e32 v20, 16, v9
	ds_read2_b32 v[82:83], v53 offset0:10 offset1:15
	ds_read2_b32 v[84:85], v53 offset0:40 offset1:45
	;; [unrolled: 1-line block ×10, first 2 shown]
	v_lshlrev_b32_e32 v21, 3, v21
	s_mov_b32 s19, 0xbaee
	s_waitcnt vmcnt(1)
	v_mul_f16_sdwa v23, v19, v4 dst_sel:DWORD dst_unused:UNUSED_PAD src0_sel:DWORD src1_sel:WORD_1
	v_fma_f16 v24, v10, v4, -v23
	v_mul_f16_sdwa v10, v10, v4 dst_sel:DWORD dst_unused:UNUSED_PAD src0_sel:DWORD src1_sel:WORD_1
	v_fma_f16 v23, v19, v4, v10
	v_mul_f16_sdwa v10, v26, v5 dst_sel:DWORD dst_unused:UNUSED_PAD src0_sel:DWORD src1_sel:WORD_1
	v_fma_f16 v28, v12, v5, -v10
	v_mul_f16_sdwa v10, v12, v5 dst_sel:DWORD dst_unused:UNUSED_PAD src0_sel:DWORD src1_sel:WORD_1
	v_fma_f16 v26, v26, v5, v10
	;; [unrolled: 4-line block ×4, first 2 shown]
	s_waitcnt vmcnt(0)
	v_mul_f16_sdwa v10, v34, v0 dst_sel:DWORD dst_unused:UNUSED_PAD src0_sel:DWORD src1_sel:WORD_1
	v_fma_f16 v33, v11, v0, -v10
	v_mul_f16_sdwa v10, v11, v0 dst_sel:DWORD dst_unused:UNUSED_PAD src0_sel:DWORD src1_sel:WORD_1
	v_fma_f16 v30, v34, v0, v10
	v_mul_f16_sdwa v10, v38, v1 dst_sel:DWORD dst_unused:UNUSED_PAD src0_sel:DWORD src1_sel:WORD_1
	v_fma_f16 v36, v13, v1, -v10
	v_mul_f16_sdwa v10, v13, v1 dst_sel:DWORD dst_unused:UNUSED_PAD src0_sel:DWORD src1_sel:WORD_1
	v_fma_f16 v34, v38, v1, v10
	;; [unrolled: 4-line block ×4, first 2 shown]
	v_mul_lo_u16_sdwa v10, v25, s18 dst_sel:DWORD dst_unused:UNUSED_PAD src0_sel:BYTE_0 src1_sel:DWORD
	v_lshrrev_b16_e32 v10, 11, v10
	v_add_f16_e32 v11, v28, v31
	v_mul_lo_u16_e32 v10, 10, v10
	v_fma_f16 v80, v11, -0.5, v8
	v_add_f16_e32 v11, v24, v35
	v_sub_u16_e32 v19, v25, v10
	v_add_f16_e32 v10, v8, v24
	v_fma_f16 v102, v11, -0.5, v8
	v_add_f16_e32 v8, v36, v39
	v_fma_f16 v103, v8, -0.5, v9
	;; [unrolled: 2-line block ×3, first 2 shown]
	v_add_f16_e32 v8, v9, v33
	v_add_f16_e32 v9, v22, v23
	;; [unrolled: 1-line block ×8, first 2 shown]
	v_pack_b32_f16 v105, v10, v9
	v_add_f16_e32 v9, v20, v30
	v_add_f16_e32 v8, v8, v36
	;; [unrolled: 1-line block ×7, first 2 shown]
	v_pack_b32_f16 v106, v8, v9
	v_lshlrev_b16_e32 v8, 2, v19
	v_and_b32_e32 v8, 0xfc, v8
	v_add_co_u32_e32 v27, vcc, 25, v75
	v_lshlrev_b32_e32 v107, 2, v8
	v_mul_lo_u16_sdwa v8, v27, s18 dst_sel:DWORD dst_unused:UNUSED_PAD src0_sel:BYTE_0 src1_sel:DWORD
	v_lshrrev_b16_e32 v8, 11, v8
	v_mul_lo_u16_e32 v8, 10, v8
	v_sub_u16_e32 v108, v27, v8
	v_lshlrev_b16_e32 v8, 2, v108
	v_and_b32_e32 v8, 0xfc, v8
	v_lshlrev_b32_e32 v109, 2, v8
	global_load_dwordx4 v[12:15], v107, s[2:3]
	global_load_dwordx4 v[8:11], v109, s[2:3]
	s_waitcnt lgkmcnt(0)
	; wave barrier
	s_waitcnt lgkmcnt(0)
	ds_write2_b32 v53, v105, v106 offset1:5
	v_sub_f16_e32 v105, v24, v28
	v_sub_f16_e32 v106, v35, v31
	v_add_f16_e32 v105, v105, v106
	v_sub_f16_e32 v106, v23, v26
	v_sub_f16_e32 v107, v32, v29
	v_add_f16_e32 v106, v106, v107
	;; [unrolled: 3-line block ×4, first 2 shown]
	v_sub_f16_e32 v114, v24, v35
	v_sub_f16_e32 v116, v28, v31
	;; [unrolled: 1-line block ×4, first 2 shown]
	v_add_f16_e32 v109, v109, v110
	v_sub_f16_e32 v110, v23, v32
	v_sub_f16_e32 v112, v26, v29
	v_fma_f16 v113, v113, -0.5, v22
	v_add_f16_e32 v24, v24, v28
	v_add_f16_e32 v28, v23, v32
	v_sub_f16_e32 v23, v26, v23
	v_sub_f16_e32 v26, v29, v32
	v_fma_f16 v111, v110, s12, v80
	v_fma_f16 v115, v114, s16, v113
	v_fma_f16 v22, v28, -0.5, v22
	v_add_f16_e32 v23, v23, v26
	v_sub_f16_e32 v26, v36, v33
	v_sub_f16_e32 v28, v39, v78
	v_fma_f16 v111, v112, s13, v111
	v_fma_f16 v115, v116, s15, v115
	v_add_f16_e32 v119, v34, v38
	v_add_f16_e32 v26, v26, v28
	;; [unrolled: 1-line block ×3, first 2 shown]
	v_fma_f16 v111, v105, s14, v111
	v_fma_f16 v115, v106, s14, v115
	v_fma_f16 v119, v119, -0.5, v20
	v_fma_f16 v20, v28, -0.5, v20
	v_sub_f16_e32 v28, v34, v30
	v_sub_f16_e32 v29, v38, v40
	v_pack_b32_f16 v111, v111, v115
	v_sub_f16_e32 v115, v30, v40
	v_add_f16_e32 v28, v28, v29
	v_fma_f16 v29, v112, s16, v102
	v_fma_f16 v30, v116, s12, v22
	;; [unrolled: 1-line block ×4, first 2 shown]
	v_sub_f16_e32 v118, v34, v38
	v_sub_f16_e32 v122, v36, v39
	v_fma_f16 v29, v24, s14, v29
	v_fma_f16 v30, v23, s14, v30
	v_sub_f16_e32 v120, v33, v78
	v_pack_b32_f16 v29, v29, v30
	v_fma_f16 v30, v118, s16, v104
	v_fma_f16 v31, v122, s12, v20
	;; [unrolled: 1-line block ×7, first 2 shown]
	v_pack_b32_f16 v30, v30, v31
	v_fma_f16 v22, v114, s13, v22
	ds_write2_b32 v53, v29, v30 offset0:20 offset1:25
	v_fma_f16 v29, v112, s12, v102
	v_fma_f16 v22, v23, s14, v22
	;; [unrolled: 1-line block ×10, first 2 shown]
	v_pack_b32_f16 v22, v24, v22
	v_pack_b32_f16 v20, v23, v20
	ds_write2_b32 v53, v22, v20 offset0:30 offset1:35
	v_fma_f16 v20, v110, s16, v80
	v_fma_f16 v22, v114, s12, v113
	;; [unrolled: 1-line block ×12, first 2 shown]
	v_pack_b32_f16 v20, v20, v22
	v_pack_b32_f16 v22, v23, v24
	v_lshrrev_b32_e32 v23, 16, v85
	v_mul_f16_sdwa v26, v85, v0 dst_sel:DWORD dst_unused:UNUSED_PAD src0_sel:DWORD src1_sel:WORD_1
	v_lshrrev_b32_e32 v29, 16, v87
	v_mul_f16_sdwa v31, v87, v1 dst_sel:DWORD dst_unused:UNUSED_PAD src0_sel:DWORD src1_sel:WORD_1
	;; [unrolled: 2-line block ×3, first 2 shown]
	ds_write2_b32 v53, v20, v22 offset0:40 offset1:45
	v_lshrrev_b32_e32 v20, 16, v84
	v_mul_f16_sdwa v22, v84, v4 dst_sel:DWORD dst_unused:UNUSED_PAD src0_sel:DWORD src1_sel:WORD_1
	v_mul_f16_sdwa v24, v23, v0 dst_sel:DWORD dst_unused:UNUSED_PAD src0_sel:DWORD src1_sel:WORD_1
	v_fma_f16 v23, v23, v0, v26
	v_lshrrev_b32_e32 v26, 16, v86
	v_mul_f16_sdwa v28, v86, v5 dst_sel:DWORD dst_unused:UNUSED_PAD src0_sel:DWORD src1_sel:WORD_1
	v_mul_f16_sdwa v30, v29, v1 dst_sel:DWORD dst_unused:UNUSED_PAD src0_sel:DWORD src1_sel:WORD_1
	v_fma_f16 v29, v29, v1, v31
	;; [unrolled: 4-line block ×3, first 2 shown]
	v_lshrrev_b32_e32 v35, 16, v90
	v_mul_f16_sdwa v36, v90, v7 dst_sel:DWORD dst_unused:UNUSED_PAD src0_sel:DWORD src1_sel:WORD_1
	v_fma_f16 v22, v20, v4, v22
	v_mul_f16_sdwa v20, v20, v4 dst_sel:DWORD dst_unused:UNUSED_PAD src0_sel:DWORD src1_sel:WORD_1
	v_fma_f16 v28, v26, v5, v28
	;; [unrolled: 2-line block ×4, first 2 shown]
	v_mul_f16_sdwa v35, v35, v7 dst_sel:DWORD dst_unused:UNUSED_PAD src0_sel:DWORD src1_sel:WORD_1
	v_fma_f16 v20, v84, v4, -v20
	v_fma_f16 v26, v86, v5, -v26
	;; [unrolled: 1-line block ×4, first 2 shown]
	v_lshrrev_b32_e32 v38, 16, v91
	v_mul_f16_sdwa v40, v91, v3 dst_sel:DWORD dst_unused:UNUSED_PAD src0_sel:DWORD src1_sel:WORD_1
	v_fma_f16 v24, v85, v0, -v24
	v_mul_f16_sdwa v39, v38, v3 dst_sel:DWORD dst_unused:UNUSED_PAD src0_sel:DWORD src1_sel:WORD_1
	v_fma_f16 v38, v38, v3, v40
	v_add_f16_e32 v40, v26, v31
	v_add_f16_e32 v78, v20, v35
	v_lshrrev_b32_e32 v85, 16, v82
	v_fma_f16 v30, v87, v1, -v30
	v_fma_f16 v40, v40, -0.5, v82
	v_fma_f16 v78, v78, -0.5, v82
	v_add_f16_e32 v82, v82, v20
	v_add_f16_e32 v87, v85, v22
	;; [unrolled: 1-line block ×4, first 2 shown]
	v_fma_f16 v34, v89, v2, -v34
	v_fma_f16 v39, v91, v3, -v39
	v_add_f16_e32 v82, v82, v31
	v_add_f16_e32 v87, v87, v32
	;; [unrolled: 1-line block ×4, first 2 shown]
	v_lshrrev_b32_e32 v86, 16, v83
	v_add_f16_e32 v82, v82, v35
	v_add_f16_e32 v87, v87, v36
	v_fma_f16 v80, v80, -0.5, v83
	v_fma_f16 v84, v84, -0.5, v83
	v_add_f16_e32 v83, v83, v24
	v_pack_b32_f16 v82, v82, v87
	v_add_f16_e32 v87, v86, v23
	v_add_f16_e32 v83, v83, v30
	;; [unrolled: 1-line block ×7, first 2 shown]
	v_pack_b32_f16 v83, v83, v87
	ds_write2_b32 v53, v82, v83 offset0:50 offset1:55
	v_sub_f16_e32 v82, v20, v26
	v_sub_f16_e32 v83, v35, v31
	v_add_f16_e32 v82, v82, v83
	v_sub_f16_e32 v83, v22, v28
	v_sub_f16_e32 v87, v36, v32
	v_add_f16_e32 v83, v83, v87
	;; [unrolled: 3-line block ×4, first 2 shown]
	v_fma_f16 v117, v115, s12, v103
	v_add_f16_e32 v88, v88, v89
	v_sub_f16_e32 v89, v22, v36
	v_fma_f16 v102, v102, -0.5, v85
	v_sub_f16_e32 v103, v20, v35
	v_fma_f16 v90, v89, s12, v40
	v_sub_f16_e32 v91, v28, v32
	v_fma_f16 v104, v103, s16, v102
	v_sub_f16_e32 v105, v26, v31
	v_sub_f16_e32 v20, v26, v20
	v_sub_f16_e32 v26, v31, v35
	v_fma_f16 v121, v120, s16, v119
	v_fma_f16 v90, v91, s13, v90
	;; [unrolled: 1-line block ×3, first 2 shown]
	v_add_f16_e32 v20, v20, v26
	v_add_f16_e32 v26, v22, v36
	v_sub_f16_e32 v22, v28, v22
	v_sub_f16_e32 v28, v32, v36
	v_fma_f16 v117, v118, s13, v117
	v_fma_f16 v121, v122, s15, v121
	;; [unrolled: 1-line block ×4, first 2 shown]
	v_sub_f16_e32 v110, v24, v39
	v_add_f16_e32 v22, v22, v28
	v_sub_f16_e32 v24, v30, v24
	v_sub_f16_e32 v28, v34, v39
	v_fma_f16 v117, v107, s14, v117
	v_fma_f16 v121, v109, s14, v121
	v_pack_b32_f16 v90, v90, v104
	v_sub_f16_e32 v104, v23, v38
	v_sub_f16_e32 v107, v29, v33
	v_add_f16_e32 v109, v29, v33
	v_fma_f16 v26, v26, -0.5, v85
	v_add_f16_e32 v24, v24, v28
	v_add_f16_e32 v28, v23, v38
	v_sub_f16_e32 v23, v29, v23
	v_sub_f16_e32 v29, v33, v38
	;; [unrolled: 1-line block ×3, first 2 shown]
	v_add_f16_e32 v23, v23, v29
	v_fma_f16 v29, v91, s16, v78
	v_fma_f16 v30, v105, s12, v26
	;; [unrolled: 1-line block ×4, first 2 shown]
	v_fma_f16 v28, v28, -0.5, v86
	v_fma_f16 v29, v20, s14, v29
	v_fma_f16 v30, v22, s14, v30
	v_pack_b32_f16 v29, v29, v30
	v_fma_f16 v30, v107, s16, v84
	v_fma_f16 v31, v112, s12, v28
	;; [unrolled: 1-line block ×10, first 2 shown]
	v_pack_b32_f16 v30, v30, v31
	v_fma_f16 v26, v104, s15, v26
	ds_write2_b32 v53, v29, v30 offset0:70 offset1:75
	v_fma_f16 v29, v91, s12, v78
	v_fma_f16 v24, v24, s14, v26
	v_fma_f16 v26, v112, s16, v28
	v_fma_f16 v29, v89, s15, v29
	v_fma_f16 v26, v110, s13, v26
	v_fma_f16 v20, v20, s14, v29
	v_fma_f16 v23, v23, s14, v26
	v_fma_f16 v109, v109, -0.5, v86
	v_pack_b32_f16 v20, v20, v22
	v_pack_b32_f16 v22, v24, v23
	ds_write2_b32 v53, v20, v22 offset0:80 offset1:85
	v_fma_f16 v20, v89, s16, v40
	v_fma_f16 v22, v103, s12, v102
	;; [unrolled: 1-line block ×12, first 2 shown]
	v_pack_b32_f16 v20, v20, v22
	v_pack_b32_f16 v23, v23, v24
	v_lshrrev_b32_e32 v26, 16, v94
	ds_write2_b32 v53, v20, v23 offset0:90 offset1:95
	s_waitcnt vmcnt(1)
	v_mul_f16_sdwa v23, v94, v12 dst_sel:DWORD dst_unused:UNUSED_PAD src0_sel:DWORD src1_sel:WORD_1
	v_lshrrev_b32_e32 v22, 16, v96
	v_lshrrev_b32_e32 v24, 16, v98
	v_mul_f16_sdwa v20, v26, v12 dst_sel:DWORD dst_unused:UNUSED_PAD src0_sel:DWORD src1_sel:WORD_1
	v_fma_f16 v23, v26, v12, v23
	v_mul_f16_sdwa v26, v96, v13 dst_sel:DWORD dst_unused:UNUSED_PAD src0_sel:DWORD src1_sel:WORD_1
	v_mul_f16_sdwa v28, v98, v14 dst_sel:DWORD dst_unused:UNUSED_PAD src0_sel:DWORD src1_sel:WORD_1
	v_lshrrev_b32_e32 v29, 16, v100
	v_mul_f16_sdwa v30, v100, v15 dst_sel:DWORD dst_unused:UNUSED_PAD src0_sel:DWORD src1_sel:WORD_1
	v_fma_f16 v26, v22, v13, v26
	v_mul_f16_sdwa v22, v22, v13 dst_sel:DWORD dst_unused:UNUSED_PAD src0_sel:DWORD src1_sel:WORD_1
	v_fma_f16 v28, v24, v14, v28
	v_mul_f16_sdwa v24, v24, v14 dst_sel:DWORD dst_unused:UNUSED_PAD src0_sel:DWORD src1_sel:WORD_1
	v_fma_f16 v30, v29, v15, v30
	v_mul_f16_sdwa v29, v29, v15 dst_sel:DWORD dst_unused:UNUSED_PAD src0_sel:DWORD src1_sel:WORD_1
	v_fma_f16 v20, v94, v12, -v20
	v_fma_f16 v22, v96, v13, -v22
	;; [unrolled: 1-line block ×4, first 2 shown]
	v_sub_f16_e32 v31, v20, v22
	v_sub_f16_e32 v32, v29, v24
	v_add_f16_e32 v31, v31, v32
	v_sub_f16_e32 v32, v23, v26
	v_sub_f16_e32 v33, v30, v28
	v_lshrrev_b32_e32 v34, 16, v92
	v_add_f16_e32 v32, v32, v33
	v_add_f16_e32 v33, v92, v20
	;; [unrolled: 1-line block ×9, first 2 shown]
	v_pack_b32_f16 v33, v33, v35
	v_add_f16_e32 v35, v22, v24
	v_add_f16_e32 v40, v26, v28
	v_pack_b32_f16 v117, v117, v121
	v_fma_f16 v106, v104, s12, v80
	v_fma_f16 v35, v35, -0.5, v92
	v_sub_f16_e32 v36, v23, v30
	v_fma_f16 v40, v40, -0.5, v34
	v_sub_f16_e32 v80, v20, v29
	ds_write2_b32 v53, v111, v117 offset0:10 offset1:15
	v_fma_f16 v111, v110, s16, v109
	v_fma_f16 v38, v36, s12, v35
	v_sub_f16_e32 v39, v26, v28
	v_fma_f16 v78, v80, s16, v40
	v_sub_f16_e32 v82, v22, v24
	v_fma_f16 v106, v107, s13, v106
	v_fma_f16 v111, v112, s15, v111
	;; [unrolled: 1-line block ×8, first 2 shown]
	v_and_b32_e32 v19, 0xff, v19
	v_pack_b32_f16 v106, v106, v111
	v_pack_b32_f16 v38, v38, v78
	v_lshl_add_u32 v78, v19, 2, v17
	ds_write2_b32 v53, v90, v106 offset0:60 offset1:65
	ds_write2_b32 v78, v33, v38 offset0:100 offset1:110
	v_lshrrev_b32_e32 v19, 16, v95
	s_waitcnt vmcnt(0)
	v_mul_f16_sdwa v38, v95, v8 dst_sel:DWORD dst_unused:UNUSED_PAD src0_sel:DWORD src1_sel:WORD_1
	v_mul_f16_sdwa v33, v19, v8 dst_sel:DWORD dst_unused:UNUSED_PAD src0_sel:DWORD src1_sel:WORD_1
	v_fma_f16 v19, v19, v8, v38
	v_lshrrev_b32_e32 v38, 16, v97
	v_mul_f16_sdwa v84, v97, v9 dst_sel:DWORD dst_unused:UNUSED_PAD src0_sel:DWORD src1_sel:WORD_1
	v_mul_f16_sdwa v83, v38, v9 dst_sel:DWORD dst_unused:UNUSED_PAD src0_sel:DWORD src1_sel:WORD_1
	v_fma_f16 v38, v38, v9, v84
	v_lshrrev_b32_e32 v84, 16, v99
	v_mul_f16_sdwa v86, v99, v10 dst_sel:DWORD dst_unused:UNUSED_PAD src0_sel:DWORD src1_sel:WORD_1
	v_sub_f16_e32 v22, v22, v20
	v_add_f16_e32 v20, v20, v29
	v_sub_f16_e32 v24, v24, v29
	v_add_f16_e32 v29, v23, v30
	v_mul_f16_sdwa v85, v84, v10 dst_sel:DWORD dst_unused:UNUSED_PAD src0_sel:DWORD src1_sel:WORD_1
	v_fma_f16 v84, v84, v10, v86
	v_lshrrev_b32_e32 v86, 16, v101
	v_fma_f16 v29, v29, -0.5, v34
	v_sub_f16_e32 v23, v26, v23
	v_sub_f16_e32 v26, v28, v30
	v_mul_f16_sdwa v87, v86, v11 dst_sel:DWORD dst_unused:UNUSED_PAD src0_sel:DWORD src1_sel:WORD_1
	v_fma_f16 v35, v36, s16, v35
	v_add_f16_e32 v23, v23, v26
	v_fma_f16 v26, v82, s12, v29
	v_fma_f16 v28, v82, s16, v29
	v_fma_f16 v33, v95, v8, -v33
	v_fma_f16 v83, v97, v9, -v83
	;; [unrolled: 1-line block ×4, first 2 shown]
	v_mul_f16_sdwa v88, v101, v11 dst_sel:DWORD dst_unused:UNUSED_PAD src0_sel:DWORD src1_sel:WORD_1
	v_fma_f16 v35, v39, s15, v35
	v_fma_f16 v26, v80, s15, v26
	;; [unrolled: 1-line block ×5, first 2 shown]
	v_fma_f16 v20, v20, -0.5, v92
	v_fma_f16 v26, v23, s14, v26
	v_fma_f16 v23, v23, s14, v28
	v_add_f16_e32 v28, v83, v85
	v_sub_f16_e32 v34, v33, v83
	v_sub_f16_e32 v35, v87, v85
	v_add_f16_e32 v22, v22, v24
	v_fma_f16 v24, v39, s16, v20
	v_fma_f16 v20, v39, s12, v20
	v_fma_f16 v28, v28, -0.5, v93
	v_add_f16_e32 v34, v34, v35
	v_sub_f16_e32 v35, v19, v86
	v_fma_f16 v24, v36, s13, v24
	v_fma_f16 v20, v36, s15, v20
	;; [unrolled: 1-line block ×3, first 2 shown]
	v_sub_f16_e32 v39, v38, v84
	v_fma_f16 v28, v35, s16, v28
	v_add_f16_e32 v29, v33, v87
	v_fma_f16 v36, v39, s13, v36
	v_fma_f16 v28, v39, s15, v28
	;; [unrolled: 1-line block ×5, first 2 shown]
	v_fma_f16 v29, v29, -0.5, v93
	v_fma_f16 v36, v34, s14, v36
	v_fma_f16 v28, v34, s14, v28
	v_sub_f16_e32 v34, v83, v33
	v_sub_f16_e32 v40, v85, v87
	v_add_f16_e32 v34, v34, v40
	v_fma_f16 v40, v39, s16, v29
	v_fma_f16 v29, v39, s12, v29
	;; [unrolled: 1-line block ×4, first 2 shown]
	v_sub_f16_e32 v35, v19, v38
	v_sub_f16_e32 v40, v86, v84
	v_fma_f16 v22, v82, s13, v22
	v_lshrrev_b32_e32 v30, 16, v93
	v_add_f16_e32 v35, v35, v40
	v_add_f16_e32 v40, v38, v84
	v_fma_f16 v22, v32, s14, v22
	v_add_f16_e32 v32, v93, v33
	v_sub_f16_e32 v33, v33, v87
	v_fma_f16 v40, v40, -0.5, v30
	v_fma_f16 v39, v34, s14, v39
	v_fma_f16 v29, v34, s14, v29
	v_sub_f16_e32 v34, v83, v85
	v_fma_f16 v80, v33, s16, v40
	v_fma_f16 v40, v33, s12, v40
	;; [unrolled: 1-line block ×6, first 2 shown]
	v_add_f16_e32 v35, v19, v86
	v_fma_f16 v35, v35, -0.5, v30
	v_add_f16_e32 v30, v30, v19
	v_add_f16_e32 v32, v32, v83
	;; [unrolled: 1-line block ×3, first 2 shown]
	v_sub_f16_e32 v19, v38, v19
	v_sub_f16_e32 v38, v84, v86
	v_pack_b32_f16 v24, v24, v26
	v_pack_b32_f16 v20, v20, v23
	v_add_f16_e32 v32, v32, v85
	v_add_f16_e32 v30, v30, v84
	;; [unrolled: 1-line block ×3, first 2 shown]
	v_fma_f16 v38, v34, s12, v35
	v_fma_f16 v34, v34, s16, v35
	ds_write2_b32 v78, v24, v20 offset0:120 offset1:130
	v_pack_b32_f16 v20, v31, v22
	v_add_f16_e32 v32, v32, v87
	v_add_f16_e32 v30, v30, v86
	v_fma_f16 v35, v33, s15, v38
	v_fma_f16 v33, v33, s13, v34
	ds_write_b32 v78, v20 offset:560
	v_and_b32_e32 v20, 0xff, v108
	v_fma_f16 v34, v19, s14, v35
	v_fma_f16 v19, v19, s14, v33
	v_lshl_add_u32 v80, v20, 2, v17
	v_pack_b32_f16 v17, v32, v30
	v_pack_b32_f16 v20, v36, v82
	ds_write2_b32 v80, v17, v20 offset0:100 offset1:110
	v_pack_b32_f16 v17, v39, v34
	v_pack_b32_f16 v19, v29, v19
	v_lshlrev_b32_e32 v35, 3, v75
	ds_write2_b32 v80, v17, v19 offset0:120 offset1:130
	v_pack_b32_f16 v17, v28, v40
	ds_write_b32 v80, v17 offset:560
	s_waitcnt lgkmcnt(0)
	; wave barrier
	s_waitcnt lgkmcnt(0)
	global_load_dwordx2 v[19:20], v35, s[2:3] offset:160
	v_lshlrev_b32_e32 v17, 3, v18
	global_load_dwordx2 v[17:18], v17, s[2:3] offset:160
	ds_read2_b32 v[28:29], v53 offset0:50 offset1:55
	ds_read2_b32 v[30:31], v53 offset0:100 offset1:105
	global_load_dwordx2 v[21:22], v21, s[2:3] offset:160
	v_add_u32_e32 v23, 0x78, v35
	global_load_dwordx2 v[23:24], v23, s[2:3] offset:160
	s_waitcnt lgkmcnt(1)
	v_lshrrev_b32_e32 v26, 16, v28
	v_lshrrev_b32_e32 v33, 16, v29
	s_waitcnt lgkmcnt(0)
	v_lshrrev_b32_e32 v32, 16, v30
	v_lshrrev_b32_e32 v38, 16, v31
	s_movk_i32 s18, 0x3aee
	v_lshlrev_b32_e32 v25, 3, v25
	v_lshlrev_b32_e32 v27, 3, v27
	s_waitcnt vmcnt(3)
	v_mul_f16_sdwa v34, v26, v19 dst_sel:DWORD dst_unused:UNUSED_PAD src0_sel:DWORD src1_sel:WORD_1
	v_fma_f16 v34, v28, v19, -v34
	v_mul_f16_sdwa v28, v28, v19 dst_sel:DWORD dst_unused:UNUSED_PAD src0_sel:DWORD src1_sel:WORD_1
	v_fma_f16 v26, v26, v19, v28
	s_waitcnt vmcnt(2)
	v_mul_f16_sdwa v28, v33, v17 dst_sel:DWORD dst_unused:UNUSED_PAD src0_sel:DWORD src1_sel:WORD_1
	v_fma_f16 v36, v29, v17, -v28
	v_mul_f16_sdwa v28, v29, v17 dst_sel:DWORD dst_unused:UNUSED_PAD src0_sel:DWORD src1_sel:WORD_1
	v_fma_f16 v40, v33, v17, v28
	v_mul_f16_sdwa v28, v30, v20 dst_sel:DWORD dst_unused:UNUSED_PAD src0_sel:DWORD src1_sel:WORD_1
	v_fma_f16 v33, v32, v20, v28
	v_mul_f16_sdwa v28, v32, v20 dst_sel:DWORD dst_unused:UNUSED_PAD src0_sel:DWORD src1_sel:WORD_1
	v_fma_f16 v30, v30, v20, -v28
	ds_read2_b32 v[28:29], v53 offset1:5
	v_mul_f16_sdwa v32, v38, v18 dst_sel:DWORD dst_unused:UNUSED_PAD src0_sel:DWORD src1_sel:WORD_1
	v_fma_f16 v98, v31, v18, -v32
	v_mul_f16_sdwa v31, v31, v18 dst_sel:DWORD dst_unused:UNUSED_PAD src0_sel:DWORD src1_sel:WORD_1
	v_fma_f16 v99, v38, v18, v31
	v_add_f16_e32 v31, v34, v30
	s_waitcnt lgkmcnt(0)
	v_fma_f16 v31, v31, -0.5, v28
	v_sub_f16_e32 v32, v26, v33
	v_fma_f16 v38, v32, s18, v31
	v_fma_f16 v100, v32, s19, v31
	v_lshrrev_b32_e32 v31, 16, v28
	v_add_f16_e32 v32, v31, v26
	v_add_f16_e32 v26, v26, v33
	;; [unrolled: 1-line block ×3, first 2 shown]
	v_fma_f16 v26, v26, -0.5, v31
	v_add_f16_e32 v28, v28, v30
	v_sub_f16_e32 v30, v34, v30
	v_fma_f16 v31, v30, s19, v26
	v_fma_f16 v26, v30, s18, v26
	v_add_f16_e32 v32, v32, v33
	v_add_f16_e32 v30, v36, v98
	v_lshrrev_b32_e32 v101, 16, v29
	v_add_f16_e32 v102, v29, v36
	v_pack_b32_f16 v100, v100, v26
	v_fma_f16 v34, v30, -0.5, v29
	v_pack_b32_f16 v103, v28, v32
	v_pack_b32_f16 v104, v38, v31
	ds_read2_b32 v[30:31], v53 offset0:10 offset1:15
	ds_read2_b32 v[28:29], v53 offset0:60 offset1:65
	;; [unrolled: 1-line block ×12, first 2 shown]
	ds_write_b32 v53, v100 offset:400
	v_add_f16_e32 v100, v102, v98
	v_add_f16_e32 v102, v101, v40
	global_load_dwordx2 v[25:26], v25, s[2:3] offset:160
	v_add_f16_e32 v102, v102, v99
	v_pack_b32_f16 v100, v100, v102
	ds_write_b32 v53, v104 offset:200
	ds_write2_b32 v53, v103, v100 offset1:5
	v_sub_f16_e32 v100, v40, v99
	v_add_f16_e32 v40, v40, v99
	v_fma_f16 v40, v40, -0.5, v101
	v_sub_f16_e32 v36, v36, v98
	v_fma_f16 v98, v100, s18, v34
	v_fma_f16 v99, v36, s19, v40
	v_pack_b32_f16 v98, v98, v99
	s_waitcnt lgkmcnt(13)
	v_lshrrev_b32_e32 v99, 16, v28
	s_waitcnt vmcnt(2)
	v_mul_f16_sdwa v101, v28, v21 dst_sel:DWORD dst_unused:UNUSED_PAD src0_sel:DWORD src1_sel:WORD_1
	v_fma_f16 v101, v99, v21, v101
	v_mul_f16_sdwa v99, v99, v21 dst_sel:DWORD dst_unused:UNUSED_PAD src0_sel:DWORD src1_sel:WORD_1
	v_fma_f16 v99, v28, v21, -v99
	s_waitcnt lgkmcnt(12)
	v_lshrrev_b32_e32 v28, 16, v32
	v_mul_f16_sdwa v102, v32, v22 dst_sel:DWORD dst_unused:UNUSED_PAD src0_sel:DWORD src1_sel:WORD_1
	v_fma_f16 v102, v28, v22, v102
	v_mul_f16_sdwa v28, v28, v22 dst_sel:DWORD dst_unused:UNUSED_PAD src0_sel:DWORD src1_sel:WORD_1
	v_fma_f16 v32, v32, v22, -v28
	v_add_f16_e32 v28, v99, v32
	v_lshrrev_b32_e32 v104, 16, v30
	v_add_f16_e32 v105, v101, v102
	v_fma_f16 v103, v28, -0.5, v30
	global_load_dwordx2 v[27:28], v27, s[2:3] offset:160
	v_fma_f16 v105, v105, -0.5, v104
	v_sub_f16_e32 v106, v101, v102
	v_sub_f16_e32 v108, v99, v32
	v_fma_f16 v107, v106, s18, v103
	v_fma_f16 v109, v108, s19, v105
	v_pack_b32_f16 v107, v107, v109
	ds_write2_b32 v53, v98, v107 offset0:55 offset1:60
	v_fma_f16 v34, v100, s19, v34
	v_fma_f16 v36, v36, s18, v40
	;; [unrolled: 1-line block ×4, first 2 shown]
	v_pack_b32_f16 v34, v34, v36
	v_pack_b32_f16 v36, v40, v98
	ds_write2_b32 v53, v34, v36 offset0:105 offset1:110
	v_lshrrev_b32_e32 v34, 16, v29
	s_waitcnt vmcnt(2)
	v_mul_f16_sdwa v36, v34, v23 dst_sel:DWORD dst_unused:UNUSED_PAD src0_sel:DWORD src1_sel:WORD_1
	v_fma_f16 v36, v29, v23, -v36
	v_mul_f16_sdwa v29, v29, v23 dst_sel:DWORD dst_unused:UNUSED_PAD src0_sel:DWORD src1_sel:WORD_1
	v_fma_f16 v34, v34, v23, v29
	v_lshrrev_b32_e32 v29, 16, v33
	v_mul_f16_sdwa v40, v29, v24 dst_sel:DWORD dst_unused:UNUSED_PAD src0_sel:DWORD src1_sel:WORD_1
	v_fma_f16 v40, v33, v24, -v40
	v_mul_f16_sdwa v33, v33, v24 dst_sel:DWORD dst_unused:UNUSED_PAD src0_sel:DWORD src1_sel:WORD_1
	v_fma_f16 v33, v29, v24, v33
	v_add_f16_e32 v29, v30, v99
	v_add_f16_e32 v32, v29, v32
	;; [unrolled: 1-line block ×5, first 2 shown]
	v_fma_f16 v99, v29, -0.5, v31
	v_add_u32_e32 v29, 0xf0, v35
	global_load_dwordx2 v[29:30], v29, s[2:3] offset:160
	v_lshrrev_b32_e32 v100, 16, v31
	v_add_f16_e32 v31, v31, v36
	v_pack_b32_f16 v32, v32, v98
	v_add_f16_e32 v98, v100, v34
	v_add_f16_e32 v31, v31, v40
	;; [unrolled: 1-line block ×3, first 2 shown]
	v_pack_b32_f16 v31, v31, v98
	ds_write2_b32 v53, v32, v31 offset0:10 offset1:15
	v_add_f16_e32 v31, v34, v33
	v_sub_f16_e32 v98, v34, v33
	v_fma_f16 v33, v31, -0.5, v100
	v_sub_f16_e32 v34, v36, v40
	v_fma_f16 v31, v98, s18, v99
	v_fma_f16 v32, v34, s19, v33
	v_pack_b32_f16 v36, v31, v32
	v_add_u32_e32 v31, 0x118, v35
	global_load_dwordx2 v[31:32], v31, s[2:3] offset:160
	s_waitcnt lgkmcnt(13)
	v_lshrrev_b32_e32 v40, 16, v82
	v_lshrrev_b32_e32 v102, 16, v38
	v_fma_f16 v33, v34, s18, v33
	v_add_u32_e32 v35, 0x168, v35
	s_waitcnt vmcnt(3)
	v_mul_f16_sdwa v100, v82, v25 dst_sel:DWORD dst_unused:UNUSED_PAD src0_sel:DWORD src1_sel:WORD_1
	v_fma_f16 v100, v40, v25, v100
	v_mul_f16_sdwa v40, v40, v25 dst_sel:DWORD dst_unused:UNUSED_PAD src0_sel:DWORD src1_sel:WORD_1
	v_fma_f16 v40, v82, v25, -v40
	s_waitcnt lgkmcnt(12)
	v_lshrrev_b32_e32 v82, 16, v84
	v_mul_f16_sdwa v101, v84, v26 dst_sel:DWORD dst_unused:UNUSED_PAD src0_sel:DWORD src1_sel:WORD_1
	v_fma_f16 v101, v82, v26, v101
	v_mul_f16_sdwa v82, v82, v26 dst_sel:DWORD dst_unused:UNUSED_PAD src0_sel:DWORD src1_sel:WORD_1
	v_fma_f16 v82, v84, v26, -v82
	v_add_f16_e32 v84, v40, v82
	v_add_f16_e32 v103, v100, v101
	v_fma_f16 v84, v84, -0.5, v38
	v_fma_f16 v103, v103, -0.5, v102
	v_sub_f16_e32 v104, v100, v101
	v_sub_f16_e32 v106, v40, v82
	v_fma_f16 v105, v104, s18, v84
	v_fma_f16 v107, v106, s19, v103
	v_pack_b32_f16 v105, v105, v107
	ds_write2_b32 v53, v36, v105 offset0:65 offset1:70
	v_fma_f16 v36, v98, s19, v99
	v_fma_f16 v34, v104, s19, v84
	;; [unrolled: 1-line block ×3, first 2 shown]
	v_pack_b32_f16 v33, v36, v33
	v_pack_b32_f16 v34, v34, v84
	ds_write2_b32 v53, v33, v34 offset0:115 offset1:120
	v_lshrrev_b32_e32 v33, 16, v83
	s_waitcnt vmcnt(2)
	v_mul_f16_sdwa v34, v33, v27 dst_sel:DWORD dst_unused:UNUSED_PAD src0_sel:DWORD src1_sel:WORD_1
	v_fma_f16 v36, v83, v27, -v34
	v_mul_f16_sdwa v34, v83, v27 dst_sel:DWORD dst_unused:UNUSED_PAD src0_sel:DWORD src1_sel:WORD_1
	v_fma_f16 v83, v33, v27, v34
	v_lshrrev_b32_e32 v33, 16, v85
	v_mul_f16_sdwa v34, v33, v28 dst_sel:DWORD dst_unused:UNUSED_PAD src0_sel:DWORD src1_sel:WORD_1
	v_fma_f16 v84, v85, v28, -v34
	v_mul_f16_sdwa v34, v85, v28 dst_sel:DWORD dst_unused:UNUSED_PAD src0_sel:DWORD src1_sel:WORD_1
	v_fma_f16 v85, v33, v28, v34
	v_add_f16_e32 v33, v38, v40
	v_add_f16_e32 v38, v33, v82
	;; [unrolled: 1-line block ×4, first 2 shown]
	v_lshlrev_b32_e32 v33, 3, v51
	v_add_f16_e32 v82, v36, v84
	v_lshrrev_b32_e32 v98, 16, v39
	global_load_dwordx2 v[33:34], v33, s[2:3] offset:160
	v_fma_f16 v82, v82, -0.5, v39
	v_add_f16_e32 v39, v39, v36
	v_pack_b32_f16 v38, v38, v40
	v_add_f16_e32 v40, v98, v83
	v_add_f16_e32 v39, v39, v84
	;; [unrolled: 1-line block ×3, first 2 shown]
	v_pack_b32_f16 v39, v39, v40
	ds_write2_b32 v53, v38, v39 offset0:20 offset1:25
	v_add_f16_e32 v39, v83, v85
	v_sub_f16_e32 v38, v83, v85
	v_fma_f16 v39, v39, -0.5, v98
	v_sub_f16_e32 v40, v36, v84
	v_fma_f16 v36, v38, s18, v82
	v_fma_f16 v83, v40, s19, v39
	v_pack_b32_f16 v83, v36, v83
	s_waitcnt lgkmcnt(13)
	v_lshrrev_b32_e32 v36, 16, v88
	s_waitcnt vmcnt(2)
	v_mul_f16_sdwa v84, v88, v29 dst_sel:DWORD dst_unused:UNUSED_PAD src0_sel:DWORD src1_sel:WORD_1
	v_fma_f16 v84, v36, v29, v84
	v_mul_f16_sdwa v36, v36, v29 dst_sel:DWORD dst_unused:UNUSED_PAD src0_sel:DWORD src1_sel:WORD_1
	v_fma_f16 v85, v88, v29, -v36
	s_waitcnt lgkmcnt(12)
	v_lshrrev_b32_e32 v36, 16, v90
	v_mul_f16_sdwa v88, v90, v30 dst_sel:DWORD dst_unused:UNUSED_PAD src0_sel:DWORD src1_sel:WORD_1
	v_fma_f16 v88, v36, v30, v88
	v_mul_f16_sdwa v98, v36, v30 dst_sel:DWORD dst_unused:UNUSED_PAD src0_sel:DWORD src1_sel:WORD_1
	global_load_dwordx2 v[35:36], v35, s[2:3] offset:160
	v_fma_f16 v90, v90, v30, -v98
	v_add_f16_e32 v98, v85, v90
	v_lshrrev_b32_e32 v99, 16, v86
	v_add_f16_e32 v100, v84, v88
	v_fma_f16 v98, v98, -0.5, v86
	v_fma_f16 v100, v100, -0.5, v99
	v_sub_f16_e32 v101, v84, v88
	v_sub_f16_e32 v103, v85, v90
	v_fma_f16 v38, v38, s19, v82
	v_fma_f16 v39, v40, s18, v39
	;; [unrolled: 1-line block ×4, first 2 shown]
	v_pack_b32_f16 v38, v38, v39
	v_pack_b32_f16 v39, v40, v82
	ds_write2_b32 v53, v38, v39 offset0:125 offset1:130
	v_lshrrev_b32_e32 v38, 16, v89
	s_waitcnt vmcnt(2)
	v_mul_f16_sdwa v40, v89, v31 dst_sel:DWORD dst_unused:UNUSED_PAD src0_sel:DWORD src1_sel:WORD_1
	v_fma_f16 v102, v101, s18, v98
	v_fma_f16 v104, v103, s19, v100
	v_mul_f16_sdwa v39, v38, v31 dst_sel:DWORD dst_unused:UNUSED_PAD src0_sel:DWORD src1_sel:WORD_1
	v_fma_f16 v38, v38, v31, v40
	v_lshrrev_b32_e32 v40, 16, v91
	v_pack_b32_f16 v102, v102, v104
	v_mul_f16_sdwa v82, v40, v32 dst_sel:DWORD dst_unused:UNUSED_PAD src0_sel:DWORD src1_sel:WORD_1
	ds_write2_b32 v53, v83, v102 offset0:75 offset1:80
	v_fma_f16 v39, v89, v31, -v39
	v_fma_f16 v82, v91, v32, -v82
	v_mul_f16_sdwa v83, v91, v32 dst_sel:DWORD dst_unused:UNUSED_PAD src0_sel:DWORD src1_sel:WORD_1
	v_fma_f16 v40, v40, v32, v83
	v_add_f16_e32 v83, v86, v85
	v_add_f16_e32 v84, v99, v84
	;; [unrolled: 1-line block ×5, first 2 shown]
	v_fma_f16 v85, v85, -0.5, v87
	v_lshrrev_b32_e32 v86, 16, v87
	v_add_f16_e32 v87, v87, v39
	v_pack_b32_f16 v83, v83, v84
	v_add_f16_e32 v84, v87, v82
	v_add_f16_e32 v87, v86, v38
	;; [unrolled: 1-line block ×3, first 2 shown]
	v_pack_b32_f16 v84, v84, v87
	ds_write2_b32 v53, v83, v84 offset0:30 offset1:35
	v_sub_f16_e32 v83, v38, v40
	v_add_f16_e32 v38, v38, v40
	v_fma_f16 v38, v38, -0.5, v86
	v_sub_f16_e32 v39, v39, v82
	v_fma_f16 v40, v83, s18, v85
	v_fma_f16 v82, v39, s19, v38
	v_pack_b32_f16 v40, v40, v82
	s_waitcnt lgkmcnt(13)
	v_lshrrev_b32_e32 v82, 16, v94
	s_waitcnt lgkmcnt(12)
	v_lshrrev_b32_e32 v86, 16, v96
	v_lshrrev_b32_e32 v89, 16, v92
	v_fma_f16 v38, v39, s18, v38
	s_waitcnt vmcnt(1)
	v_mul_f16_sdwa v84, v94, v33 dst_sel:DWORD dst_unused:UNUSED_PAD src0_sel:DWORD src1_sel:WORD_1
	v_mul_f16_sdwa v87, v96, v34 dst_sel:DWORD dst_unused:UNUSED_PAD src0_sel:DWORD src1_sel:WORD_1
	v_fma_f16 v84, v82, v33, v84
	v_mul_f16_sdwa v82, v82, v33 dst_sel:DWORD dst_unused:UNUSED_PAD src0_sel:DWORD src1_sel:WORD_1
	v_fma_f16 v87, v86, v34, v87
	v_mul_f16_sdwa v86, v86, v34 dst_sel:DWORD dst_unused:UNUSED_PAD src0_sel:DWORD src1_sel:WORD_1
	v_fma_f16 v82, v94, v33, -v82
	v_fma_f16 v86, v96, v34, -v86
	v_add_f16_e32 v88, v82, v86
	v_add_f16_e32 v90, v84, v87
	v_fma_f16 v88, v88, -0.5, v92
	v_fma_f16 v90, v90, -0.5, v89
	v_sub_f16_e32 v91, v84, v87
	v_sub_f16_e32 v96, v82, v86
	v_fma_f16 v94, v91, s18, v88
	v_fma_f16 v98, v96, s19, v90
	v_pack_b32_f16 v94, v94, v98
	ds_write2_b32 v53, v40, v94 offset0:85 offset1:90
	v_fma_f16 v40, v83, s19, v85
	v_fma_f16 v39, v91, s19, v88
	;; [unrolled: 1-line block ×3, first 2 shown]
	v_pack_b32_f16 v38, v40, v38
	v_pack_b32_f16 v39, v39, v83
	ds_write2_b32 v53, v38, v39 offset0:135 offset1:140
	v_lshrrev_b32_e32 v38, 16, v95
	s_waitcnt vmcnt(0)
	v_mul_f16_sdwa v40, v95, v35 dst_sel:DWORD dst_unused:UNUSED_PAD src0_sel:DWORD src1_sel:WORD_1
	v_mul_f16_sdwa v39, v38, v35 dst_sel:DWORD dst_unused:UNUSED_PAD src0_sel:DWORD src1_sel:WORD_1
	v_fma_f16 v38, v38, v35, v40
	v_lshrrev_b32_e32 v40, 16, v97
	v_fma_f16 v39, v95, v35, -v39
	v_mul_f16_sdwa v83, v40, v36 dst_sel:DWORD dst_unused:UNUSED_PAD src0_sel:DWORD src1_sel:WORD_1
	v_add_f16_e32 v82, v92, v82
	v_add_f16_e32 v84, v89, v84
	v_fma_f16 v83, v97, v36, -v83
	v_mul_f16_sdwa v85, v97, v36 dst_sel:DWORD dst_unused:UNUSED_PAD src0_sel:DWORD src1_sel:WORD_1
	v_add_f16_e32 v82, v82, v86
	v_add_f16_e32 v84, v84, v87
	v_lshrrev_b32_e32 v86, 16, v93
	v_add_f16_e32 v87, v93, v39
	v_fma_f16 v40, v40, v36, v85
	v_pack_b32_f16 v82, v82, v84
	v_add_f16_e32 v84, v87, v83
	v_add_f16_e32 v87, v86, v38
	;; [unrolled: 1-line block ×3, first 2 shown]
	v_pack_b32_f16 v84, v84, v87
	v_add_f16_e32 v85, v39, v83
	ds_write2_b32 v53, v82, v84 offset0:40 offset1:45
	v_sub_f16_e32 v82, v38, v40
	v_add_f16_e32 v38, v38, v40
	v_fma_f16 v85, v85, -0.5, v93
	v_fma_f16 v38, v38, -0.5, v86
	v_sub_f16_e32 v39, v39, v83
	v_fma_f16 v84, v82, s18, v85
	v_fma_f16 v82, v82, s19, v85
	;; [unrolled: 1-line block ×4, first 2 shown]
	v_pack_b32_f16 v39, v84, v40
	v_pack_b32_f16 v38, v82, v38
	ds_write_b32 v53, v39 offset:380
	ds_write_b32 v53, v38 offset:580
	s_waitcnt lgkmcnt(0)
	; wave barrier
	s_waitcnt lgkmcnt(0)
	global_load_dword v40, v37, s[0:1] offset:600
	global_load_dword v82, v37, s[6:7] offset:20
	;; [unrolled: 1-line block ×9, first 2 shown]
	ds_read2_b32 v[38:39], v53 offset1:5
	global_load_dword v91, v37, s[6:7] offset:500
	global_load_dword v92, v37, s[6:7] offset:580
	;; [unrolled: 1-line block ×7, first 2 shown]
	s_mov_b32 s0, 0xb4f2
	s_mov_b32 s1, 0xba79
	s_waitcnt lgkmcnt(0)
	v_lshrrev_b32_e32 v90, 16, v38
	s_mov_b32 s2, 0xb4e81b4f
	s_mov_b32 s3, 0x3f7b4e81
	s_waitcnt vmcnt(15)
	v_mul_f16_sdwa v93, v38, v40 dst_sel:DWORD dst_unused:UNUSED_PAD src0_sel:DWORD src1_sel:WORD_1
	v_fma_f16 v93, v90, v40, v93
	v_mul_f16_sdwa v90, v90, v40 dst_sel:DWORD dst_unused:UNUSED_PAD src0_sel:DWORD src1_sel:WORD_1
	v_fma_f16 v40, v38, v40, -v90
	v_lshrrev_b32_e32 v90, 16, v39
	s_waitcnt vmcnt(14)
	v_mul_f16_sdwa v38, v90, v82 dst_sel:DWORD dst_unused:UNUSED_PAD src0_sel:DWORD src1_sel:WORD_1
	v_fma_f16 v99, v39, v82, -v38
	v_mul_f16_sdwa v100, v39, v82 dst_sel:DWORD dst_unused:UNUSED_PAD src0_sel:DWORD src1_sel:WORD_1
	ds_read2_b32 v[38:39], v53 offset0:30 offset1:35
	v_fma_f16 v82, v90, v82, v100
	v_pack_b32_f16 v40, v40, v93
	v_pack_b32_f16 v82, v99, v82
	ds_write2_b32 v53, v40, v82 offset1:5
	s_waitcnt lgkmcnt(1)
	v_lshrrev_b32_e32 v40, 16, v38
	s_waitcnt vmcnt(13)
	v_mul_f16_sdwa v82, v38, v83 dst_sel:DWORD dst_unused:UNUSED_PAD src0_sel:DWORD src1_sel:WORD_1
	v_fma_f16 v82, v40, v83, v82
	v_mul_f16_sdwa v40, v40, v83 dst_sel:DWORD dst_unused:UNUSED_PAD src0_sel:DWORD src1_sel:WORD_1
	v_fma_f16 v40, v38, v83, -v40
	v_lshrrev_b32_e32 v83, 16, v39
	s_waitcnt vmcnt(12)
	v_mul_f16_sdwa v38, v83, v84 dst_sel:DWORD dst_unused:UNUSED_PAD src0_sel:DWORD src1_sel:WORD_1
	v_fma_f16 v90, v39, v84, -v38
	v_mul_f16_sdwa v93, v39, v84 dst_sel:DWORD dst_unused:UNUSED_PAD src0_sel:DWORD src1_sel:WORD_1
	ds_read2_b32 v[38:39], v53 offset0:60 offset1:65
	v_fma_f16 v83, v83, v84, v93
	v_pack_b32_f16 v40, v40, v82
	v_pack_b32_f16 v82, v90, v83
	ds_write2_b32 v53, v40, v82 offset0:30 offset1:35
	s_waitcnt lgkmcnt(1)
	v_lshrrev_b32_e32 v40, 16, v38
	global_load_dword v82, v37, s[6:7] offset:280
	global_load_dword v83, v37, s[6:7] offset:180
	;; [unrolled: 1-line block ×5, first 2 shown]
	s_waitcnt vmcnt(16)
	v_mul_f16_sdwa v99, v38, v85 dst_sel:DWORD dst_unused:UNUSED_PAD src0_sel:DWORD src1_sel:WORD_1
	v_fma_f16 v99, v40, v85, v99
	v_mul_f16_sdwa v40, v40, v85 dst_sel:DWORD dst_unused:UNUSED_PAD src0_sel:DWORD src1_sel:WORD_1
	v_fma_f16 v40, v38, v85, -v40
	v_lshrrev_b32_e32 v85, 16, v39
	s_waitcnt vmcnt(15)
	v_mul_f16_sdwa v38, v85, v86 dst_sel:DWORD dst_unused:UNUSED_PAD src0_sel:DWORD src1_sel:WORD_1
	v_mul_f16_sdwa v101, v39, v86 dst_sel:DWORD dst_unused:UNUSED_PAD src0_sel:DWORD src1_sel:WORD_1
	v_fma_f16 v100, v39, v86, -v38
	v_fma_f16 v85, v85, v86, v101
	v_pack_b32_f16 v40, v40, v99
	v_pack_b32_f16 v85, v100, v85
	ds_write2_b32 v53, v40, v85 offset0:60 offset1:65
	global_load_dword v40, v37, s[6:7] offset:200
	ds_read2_b32 v[38:39], v53 offset0:90 offset1:95
	global_load_dword v86, v37, s[6:7] offset:460
	global_load_dword v99, v37, s[6:7] offset:400
	global_load_dword v100, v37, s[6:7] offset:440
	global_load_dword v101, v37, s[6:7] offset:420
	global_load_dword v102, v37, s[6:7] offset:340
	s_waitcnt lgkmcnt(0)
	v_lshrrev_b32_e32 v85, 16, v38
	s_waitcnt vmcnt(20)
	v_mul_f16_sdwa v103, v38, v87 dst_sel:DWORD dst_unused:UNUSED_PAD src0_sel:DWORD src1_sel:WORD_1
	v_fma_f16 v103, v85, v87, v103
	v_mul_f16_sdwa v85, v85, v87 dst_sel:DWORD dst_unused:UNUSED_PAD src0_sel:DWORD src1_sel:WORD_1
	v_fma_f16 v85, v38, v87, -v85
	v_lshrrev_b32_e32 v87, 16, v39
	s_waitcnt vmcnt(19)
	v_mul_f16_sdwa v38, v87, v88 dst_sel:DWORD dst_unused:UNUSED_PAD src0_sel:DWORD src1_sel:WORD_1
	v_fma_f16 v104, v39, v88, -v38
	v_mul_f16_sdwa v105, v39, v88 dst_sel:DWORD dst_unused:UNUSED_PAD src0_sel:DWORD src1_sel:WORD_1
	ds_read2_b32 v[38:39], v53 offset0:120 offset1:125
	v_fma_f16 v87, v87, v88, v105
	v_pack_b32_f16 v85, v85, v103
	v_pack_b32_f16 v87, v104, v87
	ds_write2_b32 v53, v85, v87 offset0:90 offset1:95
	s_waitcnt lgkmcnt(1)
	v_lshrrev_b32_e32 v85, 16, v38
	s_waitcnt vmcnt(18)
	v_mul_f16_sdwa v87, v38, v89 dst_sel:DWORD dst_unused:UNUSED_PAD src0_sel:DWORD src1_sel:WORD_1
	v_fma_f16 v87, v85, v89, v87
	v_mul_f16_sdwa v85, v85, v89 dst_sel:DWORD dst_unused:UNUSED_PAD src0_sel:DWORD src1_sel:WORD_1
	v_fma_f16 v85, v38, v89, -v85
	global_load_dword v89, v37, s[6:7] offset:520
	global_load_dword v103, v37, s[6:7] offset:560
	;; [unrolled: 1-line block ×3, first 2 shown]
	v_lshrrev_b32_e32 v88, 16, v39
	s_waitcnt vmcnt(20)
	v_mul_f16_sdwa v37, v88, v91 dst_sel:DWORD dst_unused:UNUSED_PAD src0_sel:DWORD src1_sel:WORD_1
	v_fma_f16 v105, v39, v91, -v37
	ds_read2_b32 v[37:38], v53 offset0:10 offset1:15
	v_mul_f16_sdwa v39, v39, v91 dst_sel:DWORD dst_unused:UNUSED_PAD src0_sel:DWORD src1_sel:WORD_1
	v_fma_f16 v39, v88, v91, v39
	v_pack_b32_f16 v85, v85, v87
	v_pack_b32_f16 v39, v105, v39
	ds_write2_b32 v53, v85, v39 offset0:120 offset1:125
	s_waitcnt lgkmcnt(1)
	v_lshrrev_b32_e32 v39, 16, v38
	s_waitcnt vmcnt(15)
	v_mul_f16_sdwa v85, v38, v97 dst_sel:DWORD dst_unused:UNUSED_PAD src0_sel:DWORD src1_sel:WORD_1
	v_fma_f16 v85, v39, v97, v85
	v_mul_f16_sdwa v39, v39, v97 dst_sel:DWORD dst_unused:UNUSED_PAD src0_sel:DWORD src1_sel:WORD_1
	v_lshrrev_b32_e32 v87, 16, v37
	v_fma_f16 v39, v38, v97, -v39
	s_waitcnt vmcnt(14)
	v_mul_f16_sdwa v38, v87, v98 dst_sel:DWORD dst_unused:UNUSED_PAD src0_sel:DWORD src1_sel:WORD_1
	v_fma_f16 v88, v37, v98, -v38
	v_mul_f16_sdwa v91, v37, v98 dst_sel:DWORD dst_unused:UNUSED_PAD src0_sel:DWORD src1_sel:WORD_1
	ds_read2_b32 v[37:38], v53 offset0:20 offset1:25
	v_fma_f16 v87, v87, v98, v91
	v_pack_b32_f16 v39, v39, v85
	v_pack_b32_f16 v85, v88, v87
	ds_write2_b32 v53, v85, v39 offset0:10 offset1:15
	s_waitcnt lgkmcnt(1)
	v_lshrrev_b32_e32 v39, 16, v37
	v_mul_f16_sdwa v85, v37, v96 dst_sel:DWORD dst_unused:UNUSED_PAD src0_sel:DWORD src1_sel:WORD_1
	v_fma_f16 v85, v39, v96, v85
	v_mul_f16_sdwa v39, v39, v96 dst_sel:DWORD dst_unused:UNUSED_PAD src0_sel:DWORD src1_sel:WORD_1
	v_lshrrev_b32_e32 v87, 16, v38
	v_fma_f16 v39, v37, v96, -v39
	v_mul_f16_sdwa v37, v87, v95 dst_sel:DWORD dst_unused:UNUSED_PAD src0_sel:DWORD src1_sel:WORD_1
	v_fma_f16 v88, v38, v95, -v37
	v_mul_f16_sdwa v91, v38, v95 dst_sel:DWORD dst_unused:UNUSED_PAD src0_sel:DWORD src1_sel:WORD_1
	ds_read2_b32 v[37:38], v53 offset0:40 offset1:45
	v_fma_f16 v87, v87, v95, v91
	v_pack_b32_f16 v39, v39, v85
	v_pack_b32_f16 v85, v88, v87
	ds_write2_b32 v53, v39, v85 offset0:20 offset1:25
	s_waitcnt lgkmcnt(1)
	v_lshrrev_b32_e32 v39, 16, v38
	s_waitcnt vmcnt(12)
	v_mul_f16_sdwa v85, v38, v83 dst_sel:DWORD dst_unused:UNUSED_PAD src0_sel:DWORD src1_sel:WORD_1
	v_fma_f16 v85, v39, v83, v85
	v_mul_f16_sdwa v39, v39, v83 dst_sel:DWORD dst_unused:UNUSED_PAD src0_sel:DWORD src1_sel:WORD_1
	v_fma_f16 v39, v38, v83, -v39
	v_lshrrev_b32_e32 v83, 16, v37
	v_mul_f16_sdwa v38, v83, v94 dst_sel:DWORD dst_unused:UNUSED_PAD src0_sel:DWORD src1_sel:WORD_1
	v_fma_f16 v87, v37, v94, -v38
	v_mul_f16_sdwa v88, v37, v94 dst_sel:DWORD dst_unused:UNUSED_PAD src0_sel:DWORD src1_sel:WORD_1
	ds_read2_b32 v[37:38], v53 offset0:50 offset1:55
	v_fma_f16 v83, v83, v94, v88
	v_pack_b32_f16 v39, v39, v85
	v_pack_b32_f16 v83, v87, v83
	ds_write2_b32 v53, v83, v39 offset0:40 offset1:45
	s_waitcnt lgkmcnt(1)
	v_lshrrev_b32_e32 v39, 16, v37
	s_waitcnt vmcnt(9)
	v_mul_f16_sdwa v87, v38, v93 dst_sel:DWORD dst_unused:UNUSED_PAD src0_sel:DWORD src1_sel:WORD_1
	s_movk_i32 s6, 0x1ff
	s_waitcnt vmcnt(8)
	v_mul_f16_sdwa v83, v37, v40 dst_sel:DWORD dst_unused:UNUSED_PAD src0_sel:DWORD src1_sel:WORD_1
	v_fma_f16 v83, v39, v40, v83
	v_mul_f16_sdwa v39, v39, v40 dst_sel:DWORD dst_unused:UNUSED_PAD src0_sel:DWORD src1_sel:WORD_1
	v_fma_f16 v39, v37, v40, -v39
	v_lshrrev_b32_e32 v40, 16, v38
	v_mul_f16_sdwa v37, v40, v93 dst_sel:DWORD dst_unused:UNUSED_PAD src0_sel:DWORD src1_sel:WORD_1
	v_fma_f16 v85, v38, v93, -v37
	ds_read2_b32 v[37:38], v53 offset0:70 offset1:75
	v_fma_f16 v40, v40, v93, v87
	v_pack_b32_f16 v39, v39, v83
	v_pack_b32_f16 v40, v85, v40
	ds_write2_b32 v53, v39, v40 offset0:50 offset1:55
	s_waitcnt lgkmcnt(1)
	v_lshrrev_b32_e32 v39, 16, v38
	v_mul_f16_sdwa v40, v38, v90 dst_sel:DWORD dst_unused:UNUSED_PAD src0_sel:DWORD src1_sel:WORD_1
	v_fma_f16 v40, v39, v90, v40
	v_mul_f16_sdwa v39, v39, v90 dst_sel:DWORD dst_unused:UNUSED_PAD src0_sel:DWORD src1_sel:WORD_1
	v_lshrrev_b32_e32 v83, 16, v37
	v_fma_f16 v39, v38, v90, -v39
	v_mul_f16_sdwa v38, v83, v82 dst_sel:DWORD dst_unused:UNUSED_PAD src0_sel:DWORD src1_sel:WORD_1
	v_fma_f16 v85, v37, v82, -v38
	v_mul_f16_sdwa v87, v37, v82 dst_sel:DWORD dst_unused:UNUSED_PAD src0_sel:DWORD src1_sel:WORD_1
	ds_read2_b32 v[37:38], v53 offset0:80 offset1:85
	v_fma_f16 v82, v83, v82, v87
	v_pack_b32_f16 v39, v39, v40
	v_pack_b32_f16 v40, v85, v82
	ds_write2_b32 v53, v40, v39 offset0:70 offset1:75
	s_waitcnt lgkmcnt(1)
	v_lshrrev_b32_e32 v39, 16, v37
	v_mul_f16_sdwa v40, v37, v84 dst_sel:DWORD dst_unused:UNUSED_PAD src0_sel:DWORD src1_sel:WORD_1
	v_fma_f16 v40, v39, v84, v40
	v_mul_f16_sdwa v39, v39, v84 dst_sel:DWORD dst_unused:UNUSED_PAD src0_sel:DWORD src1_sel:WORD_1
	v_lshrrev_b32_e32 v82, 16, v38
	v_fma_f16 v39, v37, v84, -v39
	s_waitcnt vmcnt(3)
	v_mul_f16_sdwa v37, v82, v102 dst_sel:DWORD dst_unused:UNUSED_PAD src0_sel:DWORD src1_sel:WORD_1
	v_fma_f16 v83, v38, v102, -v37
	v_mul_f16_sdwa v84, v38, v102 dst_sel:DWORD dst_unused:UNUSED_PAD src0_sel:DWORD src1_sel:WORD_1
	ds_read2_b32 v[37:38], v53 offset0:100 offset1:105
	v_fma_f16 v82, v82, v102, v84
	v_pack_b32_f16 v39, v39, v40
	v_pack_b32_f16 v40, v83, v82
	ds_write2_b32 v53, v39, v40 offset0:80 offset1:85
	s_waitcnt lgkmcnt(1)
	v_lshrrev_b32_e32 v39, 16, v38
	v_mul_f16_sdwa v40, v38, v101 dst_sel:DWORD dst_unused:UNUSED_PAD src0_sel:DWORD src1_sel:WORD_1
	v_fma_f16 v40, v39, v101, v40
	v_mul_f16_sdwa v39, v39, v101 dst_sel:DWORD dst_unused:UNUSED_PAD src0_sel:DWORD src1_sel:WORD_1
	v_lshrrev_b32_e32 v82, 16, v37
	v_fma_f16 v39, v38, v101, -v39
	v_mul_f16_sdwa v38, v82, v99 dst_sel:DWORD dst_unused:UNUSED_PAD src0_sel:DWORD src1_sel:WORD_1
	v_fma_f16 v83, v37, v99, -v38
	v_mul_f16_sdwa v84, v37, v99 dst_sel:DWORD dst_unused:UNUSED_PAD src0_sel:DWORD src1_sel:WORD_1
	ds_read2_b32 v[37:38], v53 offset0:110 offset1:115
	v_fma_f16 v82, v82, v99, v84
	v_pack_b32_f16 v39, v39, v40
	v_pack_b32_f16 v40, v83, v82
	ds_write2_b32 v53, v40, v39 offset0:100 offset1:105
	s_waitcnt lgkmcnt(1)
	v_lshrrev_b32_e32 v39, 16, v37
	v_mul_f16_sdwa v40, v37, v100 dst_sel:DWORD dst_unused:UNUSED_PAD src0_sel:DWORD src1_sel:WORD_1
	v_fma_f16 v40, v39, v100, v40
	v_mul_f16_sdwa v39, v39, v100 dst_sel:DWORD dst_unused:UNUSED_PAD src0_sel:DWORD src1_sel:WORD_1
	v_lshrrev_b32_e32 v82, 16, v38
	v_fma_f16 v39, v37, v100, -v39
	v_mul_f16_sdwa v37, v82, v86 dst_sel:DWORD dst_unused:UNUSED_PAD src0_sel:DWORD src1_sel:WORD_1
	v_fma_f16 v83, v38, v86, -v37
	v_mul_f16_sdwa v84, v38, v86 dst_sel:DWORD dst_unused:UNUSED_PAD src0_sel:DWORD src1_sel:WORD_1
	ds_read2_b32 v[37:38], v53 offset0:130 offset1:135
	v_fma_f16 v82, v82, v86, v84
	v_pack_b32_f16 v39, v39, v40
	v_pack_b32_f16 v40, v83, v82
	ds_write2_b32 v53, v39, v40 offset0:110 offset1:115
	s_waitcnt lgkmcnt(1)
	v_lshrrev_b32_e32 v39, 16, v38
	s_waitcnt vmcnt(0)
	v_mul_f16_sdwa v40, v38, v104 dst_sel:DWORD dst_unused:UNUSED_PAD src0_sel:DWORD src1_sel:WORD_1
	v_fma_f16 v40, v39, v104, v40
	v_mul_f16_sdwa v39, v39, v104 dst_sel:DWORD dst_unused:UNUSED_PAD src0_sel:DWORD src1_sel:WORD_1
	v_lshrrev_b32_e32 v82, 16, v37
	v_fma_f16 v39, v38, v104, -v39
	v_mul_f16_sdwa v38, v82, v89 dst_sel:DWORD dst_unused:UNUSED_PAD src0_sel:DWORD src1_sel:WORD_1
	v_fma_f16 v83, v37, v89, -v38
	v_mul_f16_sdwa v84, v37, v89 dst_sel:DWORD dst_unused:UNUSED_PAD src0_sel:DWORD src1_sel:WORD_1
	ds_read2_b32 v[37:38], v53 offset0:140 offset1:145
	v_fma_f16 v82, v82, v89, v84
	v_pack_b32_f16 v39, v39, v40
	v_pack_b32_f16 v40, v83, v82
	ds_write2_b32 v53, v40, v39 offset0:130 offset1:135
	s_waitcnt lgkmcnt(1)
	v_lshrrev_b32_e32 v39, 16, v37
	v_mul_f16_sdwa v40, v37, v103 dst_sel:DWORD dst_unused:UNUSED_PAD src0_sel:DWORD src1_sel:WORD_1
	v_fma_f16 v40, v39, v103, v40
	v_mul_f16_sdwa v39, v39, v103 dst_sel:DWORD dst_unused:UNUSED_PAD src0_sel:DWORD src1_sel:WORD_1
	v_fma_f16 v37, v37, v103, -v39
	v_lshrrev_b32_e32 v39, 16, v38
	v_mul_f16_sdwa v82, v39, v92 dst_sel:DWORD dst_unused:UNUSED_PAD src0_sel:DWORD src1_sel:WORD_1
	v_fma_f16 v82, v38, v92, -v82
	v_mul_f16_sdwa v38, v38, v92 dst_sel:DWORD dst_unused:UNUSED_PAD src0_sel:DWORD src1_sel:WORD_1
	v_fma_f16 v38, v39, v92, v38
	v_pack_b32_f16 v37, v37, v40
	v_pack_b32_f16 v38, v82, v38
	ds_write2_b32 v53, v37, v38 offset0:140 offset1:145
	s_waitcnt lgkmcnt(0)
	; wave barrier
	s_waitcnt lgkmcnt(0)
	ds_read2_b32 v[37:38], v53 offset0:90 offset1:95
	ds_read2_b32 v[39:40], v53 offset0:120 offset1:125
	;; [unrolled: 1-line block ×4, first 2 shown]
	ds_read2_b32 v[86:87], v53 offset1:5
	s_movk_i32 s7, 0xffe
	s_waitcnt lgkmcnt(3)
	v_sub_f16_e32 v88, v37, v39
	s_waitcnt lgkmcnt(2)
	v_sub_f16_sdwa v112, v82, v39 dst_sel:DWORD dst_unused:UNUSED_PAD src0_sel:WORD_1 src1_sel:WORD_1
	s_waitcnt lgkmcnt(1)
	v_sub_f16_e32 v89, v84, v82
	v_add_f16_e32 v88, v89, v88
	v_add_f16_e32 v89, v82, v39
	s_waitcnt lgkmcnt(0)
	v_fma_f16 v89, v89, -0.5, v86
	v_sub_f16_sdwa v113, v84, v37 dst_sel:DWORD dst_unused:UNUSED_PAD src0_sel:WORD_1 src1_sel:WORD_1
	v_fma_f16 v90, v113, s12, v89
	v_fma_f16 v89, v113, s16, v89
	;; [unrolled: 1-line block ×6, first 2 shown]
	v_sub_f16_sdwa v88, v84, v82 dst_sel:DWORD dst_unused:UNUSED_PAD src0_sel:WORD_1 src1_sel:WORD_1
	v_sub_f16_sdwa v89, v37, v39 dst_sel:DWORD dst_unused:UNUSED_PAD src0_sel:WORD_1 src1_sel:WORD_1
	v_add_f16_e32 v96, v88, v89
	v_lshrrev_b32_e32 v100, 16, v86
	v_add_f16_sdwa v88, v82, v39 dst_sel:DWORD dst_unused:UNUSED_PAD src0_sel:WORD_1 src1_sel:WORD_1
	v_fma_f16 v88, v88, -0.5, v100
	v_sub_f16_e32 v117, v84, v37
	v_sub_f16_e32 v116, v82, v39
	v_fma_f16 v89, v117, s16, v88
	v_fma_f16 v89, v116, s13, v89
	;; [unrolled: 1-line block ×4, first 2 shown]
	ds_read2_b32 v[88:89], v53 offset0:100 offset1:105
	ds_read2_b32 v[90:91], v53 offset0:130 offset1:135
	;; [unrolled: 1-line block ×4, first 2 shown]
	v_fma_f16 v97, v116, s15, v97
	v_fma_f16 v119, v96, s14, v97
	ds_read2_b32 v[96:97], v53 offset0:10 offset1:15
	s_waitcnt lgkmcnt(3)
	v_sub_f16_e32 v98, v89, v91
	s_waitcnt lgkmcnt(1)
	v_sub_f16_e32 v99, v95, v93
	v_add_f16_e32 v98, v99, v98
	v_add_f16_e32 v99, v93, v91
	s_waitcnt lgkmcnt(0)
	v_fma_f16 v99, v99, -0.5, v97
	v_sub_f16_sdwa v121, v95, v89 dst_sel:DWORD dst_unused:UNUSED_PAD src0_sel:WORD_1 src1_sel:WORD_1
	v_sub_f16_sdwa v120, v93, v91 dst_sel:DWORD dst_unused:UNUSED_PAD src0_sel:WORD_1 src1_sel:WORD_1
	v_fma_f16 v101, v121, s12, v99
	v_fma_f16 v99, v121, s16, v99
	;; [unrolled: 1-line block ×6, first 2 shown]
	v_sub_f16_sdwa v99, v95, v93 dst_sel:DWORD dst_unused:UNUSED_PAD src0_sel:WORD_1 src1_sel:WORD_1
	v_sub_f16_sdwa v102, v89, v91 dst_sel:DWORD dst_unused:UNUSED_PAD src0_sel:WORD_1 src1_sel:WORD_1
	v_add_f16_e32 v99, v99, v102
	v_lshrrev_b32_e32 v102, 16, v97
	v_add_f16_sdwa v103, v93, v91 dst_sel:DWORD dst_unused:UNUSED_PAD src0_sel:WORD_1 src1_sel:WORD_1
	v_fma_f16 v103, v103, -0.5, v102
	v_sub_f16_e32 v123, v95, v89
	v_sub_f16_e32 v122, v93, v91
	v_fma_f16 v104, v123, s16, v103
	v_fma_f16 v104, v122, s13, v104
	;; [unrolled: 1-line block ×6, first 2 shown]
	v_mul_f16_e32 v103, 0xbb9c, v104
	v_fma_f16 v124, v101, s14, v103
	v_mul_f16_e32 v103, 0x34f2, v104
	v_fma_f16 v125, v101, s12, v103
	v_mul_f16_e32 v101, 0xbb9c, v99
	v_mul_f16_e32 v99, 0xb4f2, v99
	v_fma_f16 v126, v98, s0, v101
	v_fma_f16 v127, v98, s12, v99
	v_add_f16_e32 v98, v115, v126
	v_add_f16_e32 v99, v119, v127
	v_pack_b32_f16 v99, v98, v99
	v_add_f16_e32 v98, v114, v124
	v_add_f16_e32 v101, v118, v125
	v_pack_b32_f16 v98, v98, v101
	v_sub_f16_e32 v101, v39, v37
	v_sub_f16_e32 v103, v82, v84
	v_add_f16_e32 v128, v103, v101
	v_add_f16_sdwa v101, v84, v37 dst_sel:DWORD dst_unused:UNUSED_PAD src0_sel:WORD_1 src1_sel:WORD_1
	v_fma_f16 v129, v101, -0.5, v100
	v_sub_f16_sdwa v100, v82, v84 dst_sel:DWORD dst_unused:UNUSED_PAD src0_sel:WORD_1 src1_sel:WORD_1
	v_sub_f16_sdwa v101, v39, v37 dst_sel:DWORD dst_unused:UNUSED_PAD src0_sel:WORD_1 src1_sel:WORD_1
	v_add_f16_e32 v130, v100, v101
	v_sub_f16_e32 v100, v91, v89
	v_sub_f16_e32 v101, v93, v95
	v_add_f16_e32 v131, v101, v100
	v_add_f16_sdwa v100, v95, v89 dst_sel:DWORD dst_unused:UNUSED_PAD src0_sel:WORD_1 src1_sel:WORD_1
	v_fma_f16 v132, v100, -0.5, v102
	v_sub_f16_sdwa v100, v93, v95 dst_sel:DWORD dst_unused:UNUSED_PAD src0_sel:WORD_1 src1_sel:WORD_1
	v_sub_f16_sdwa v101, v91, v89 dst_sel:DWORD dst_unused:UNUSED_PAD src0_sel:WORD_1 src1_sel:WORD_1
	v_add_f16_e32 v133, v100, v101
	v_add_f16_e32 v100, v95, v89
	v_fma_f16 v134, v100, -0.5, v97
	v_fma_f16 v101, v122, s12, v132
	v_fma_f16 v100, v120, s16, v134
	;; [unrolled: 1-line block ×6, first 2 shown]
	v_mul_f16_e32 v102, 0xb8b4, v101
	v_fma_f16 v135, v100, s17, v102
	v_mul_f16_e32 v100, 0x38b4, v100
	v_pk_add_f16 v82, v86, v82
	v_fma_f16 v136, v101, s17, v100
	v_add_f16_e32 v100, v84, v37
	v_pk_add_f16 v82, v82, v84
	v_fma_f16 v137, v100, -0.5, v86
	v_pk_add_f16 v37, v82, v37
	v_fma_f16 v100, v112, s16, v137
	v_pk_add_f16 v37, v37, v39
	v_fma_f16 v39, v116, s12, v129
	;; [unrolled: 2-line block ×3, first 2 shown]
	v_fma_f16 v39, v117, s13, v39
	v_pk_add_f16 v82, v82, v95
	v_fma_f16 v138, v128, s14, v100
	v_fma_f16 v39, v130, s14, v39
	v_pk_add_f16 v82, v82, v89
	v_pk_add_f16 v82, v82, v91
	v_add_f16_e32 v84, v138, v135
	v_add_f16_e32 v86, v39, v136
	v_pack_b32_f16 v101, v84, v86
	v_pk_add_f16 v100, v37, v82
	v_sub_f16_e32 v86, v114, v124
	v_sub_f16_e32 v89, v118, v125
	ds_read2_b32 v[102:103], v53 offset0:20 offset1:25
	ds_read2_b32 v[104:105], v53 offset0:50 offset1:55
	;; [unrolled: 1-line block ×5, first 2 shown]
	s_waitcnt lgkmcnt(0)
	; wave barrier
	s_waitcnt lgkmcnt(0)
	ds_write2_b64 v77, v[100:101], v[98:99] offset1:1
	v_pack_b32_f16 v98, v86, v89
	v_fma_f16 v89, v122, s16, v132
	v_sub_f16_e32 v84, v138, v135
	v_sub_f16_e32 v39, v39, v136
	v_fma_f16 v86, v120, s12, v134
	v_fma_f16 v89, v123, s15, v89
	v_pack_b32_f16 v97, v84, v39
	v_fma_f16 v39, v112, s12, v137
	v_fma_f16 v84, v116, s16, v129
	;; [unrolled: 1-line block ×7, first 2 shown]
	v_mul_f16_e32 v91, 0xb8b4, v89
	v_mul_f16_e32 v89, 0xba79, v89
	v_fma_f16 v39, v128, s14, v39
	v_fma_f16 v84, v130, s14, v84
	v_fma_f16 v91, v86, s1, v91
	v_fma_f16 v86, v86, s13, v89
	v_pk_add_f16 v100, v37, v82 neg_lo:[0,1] neg_hi:[0,1]
	v_add_f16_e32 v37, v39, v91
	v_add_f16_e32 v82, v84, v86
	v_pack_b32_f16 v99, v37, v82
	v_sub_f16_e32 v37, v115, v126
	v_sub_f16_e32 v82, v119, v127
	ds_write2_b64 v77, v[99:100], v[97:98] offset0:2 offset1:3
	v_pack_b32_f16 v97, v37, v82
	v_pk_add_f16 v37, v87, v83
	v_sub_f16_e32 v39, v39, v91
	v_sub_f16_e32 v84, v84, v86
	v_pk_add_f16 v37, v37, v85
	v_pack_b32_f16 v98, v39, v84
	v_add_f16_e32 v95, v83, v40
	v_pk_add_f16 v37, v37, v38
	ds_write_b64 v77, v[97:98] offset:32
	v_add_f16_e32 v39, v85, v38
	v_sub_f16_sdwa v77, v85, v38 dst_sel:DWORD dst_unused:UNUSED_PAD src0_sel:WORD_1 src1_sel:WORD_1
	v_sub_f16_e32 v82, v83, v85
	v_sub_f16_e32 v84, v85, v83
	v_add_f16_sdwa v86, v85, v38 dst_sel:DWORD dst_unused:UNUSED_PAD src0_sel:WORD_1 src1_sel:WORD_1
	v_sub_f16_e32 v89, v85, v38
	v_sub_f16_sdwa v91, v83, v85 dst_sel:DWORD dst_unused:UNUSED_PAD src0_sel:WORD_1 src1_sel:WORD_1
	v_sub_f16_sdwa v85, v85, v83 dst_sel:DWORD dst_unused:UNUSED_PAD src0_sel:WORD_1 src1_sel:WORD_1
	;; [unrolled: 1-line block ×3, first 2 shown]
	v_sub_f16_e32 v97, v83, v40
	v_add_f16_sdwa v83, v83, v40 dst_sel:DWORD dst_unused:UNUSED_PAD src0_sel:WORD_1 src1_sel:WORD_1
	v_sub_f16_e32 v98, v40, v38
	v_sub_f16_e32 v99, v38, v40
	v_sub_f16_sdwa v100, v40, v38 dst_sel:DWORD dst_unused:UNUSED_PAD src0_sel:WORD_1 src1_sel:WORD_1
	v_sub_f16_sdwa v38, v38, v40 dst_sel:DWORD dst_unused:UNUSED_PAD src0_sel:WORD_1 src1_sel:WORD_1
	v_pk_add_f16 v101, v37, v40
	v_fma_f16 v40, v95, -0.5, v87
	v_add_f16_e32 v37, v84, v99
	v_fma_f16 v84, v77, s12, v40
	v_fma_f16 v40, v77, s16, v40
	v_fma_f16 v84, v93, s15, v84
	v_fma_f16 v40, v93, s13, v40
	v_fma_f16 v99, v39, -0.5, v87
	v_lshrrev_b32_e32 v39, 16, v87
	v_fma_f16 v84, v37, s14, v84
	v_fma_f16 v95, v37, s14, v40
	v_add_f16_e32 v37, v85, v38
	v_fma_f16 v38, v83, -0.5, v39
	v_fma_f16 v40, v89, s16, v38
	v_fma_f16 v38, v89, s12, v38
	;; [unrolled: 1-line block ×6, first 2 shown]
	v_sub_f16_e32 v37, v108, v110
	v_sub_f16_e32 v38, v106, v104
	v_add_f16_e32 v37, v38, v37
	v_add_f16_e32 v38, v104, v110
	v_fma_f16 v38, v38, -0.5, v102
	v_sub_f16_sdwa v112, v106, v108 dst_sel:DWORD dst_unused:UNUSED_PAD src0_sel:WORD_1 src1_sel:WORD_1
	v_sub_f16_sdwa v87, v104, v110 dst_sel:DWORD dst_unused:UNUSED_PAD src0_sel:WORD_1 src1_sel:WORD_1
	v_fma_f16 v40, v112, s12, v38
	v_fma_f16 v38, v112, s16, v38
	;; [unrolled: 1-line block ×6, first 2 shown]
	v_sub_f16_sdwa v38, v106, v104 dst_sel:DWORD dst_unused:UNUSED_PAD src0_sel:WORD_1 src1_sel:WORD_1
	v_sub_f16_sdwa v113, v108, v110 dst_sel:DWORD dst_unused:UNUSED_PAD src0_sel:WORD_1 src1_sel:WORD_1
	v_add_f16_e32 v38, v38, v113
	v_lshrrev_b32_e32 v113, 16, v102
	v_add_f16_sdwa v114, v104, v110 dst_sel:DWORD dst_unused:UNUSED_PAD src0_sel:WORD_1 src1_sel:WORD_1
	v_fma_f16 v114, v114, -0.5, v113
	v_sub_f16_e32 v116, v106, v108
	v_sub_f16_e32 v115, v104, v110
	v_fma_f16 v117, v116, s16, v114
	v_fma_f16 v117, v115, s13, v117
	;; [unrolled: 1-line block ×6, first 2 shown]
	v_mul_f16_e32 v114, 0xbb9c, v117
	v_mul_f16_e32 v117, 0x34f2, v117
	v_fma_f16 v114, v40, s14, v114
	v_fma_f16 v117, v40, s12, v117
	v_mul_f16_e32 v40, 0xbb9c, v38
	v_mul_f16_e32 v38, 0xb4f2, v38
	v_fma_f16 v118, v37, s0, v40
	v_fma_f16 v119, v37, s12, v38
	v_add_f16_e32 v37, v95, v118
	v_add_f16_e32 v38, v85, v119
	v_pack_b32_f16 v38, v37, v38
	v_add_f16_e32 v37, v84, v114
	v_add_f16_e32 v40, v83, v117
	v_pack_b32_f16 v37, v37, v40
	v_fma_f16 v86, v86, -0.5, v39
	v_sub_f16_e32 v39, v110, v108
	v_sub_f16_e32 v40, v104, v106
	v_add_f16_e32 v82, v82, v98
	v_add_f16_e32 v98, v40, v39
	v_add_f16_sdwa v39, v106, v108 dst_sel:DWORD dst_unused:UNUSED_PAD src0_sel:WORD_1 src1_sel:WORD_1
	v_add_f16_e32 v91, v91, v100
	v_fma_f16 v100, v39, -0.5, v113
	v_sub_f16_sdwa v39, v104, v106 dst_sel:DWORD dst_unused:UNUSED_PAD src0_sel:WORD_1 src1_sel:WORD_1
	v_sub_f16_sdwa v40, v110, v108 dst_sel:DWORD dst_unused:UNUSED_PAD src0_sel:WORD_1 src1_sel:WORD_1
	v_add_f16_e32 v113, v39, v40
	v_add_f16_e32 v39, v106, v108
	v_fma_f16 v120, v39, -0.5, v102
	v_fma_f16 v40, v115, s12, v100
	v_fma_f16 v39, v87, s16, v120
	;; [unrolled: 1-line block ×6, first 2 shown]
	v_mul_f16_e32 v121, 0xb8b4, v40
	v_fma_f16 v121, v39, s17, v121
	v_mul_f16_e32 v39, 0x38b4, v39
	v_fma_f16 v122, v40, s17, v39
	v_fma_f16 v39, v93, s16, v99
	;; [unrolled: 1-line block ×7, first 2 shown]
	v_pk_add_f16 v39, v102, v104
	v_pk_add_f16 v39, v39, v106
	v_pk_add_f16 v39, v39, v108
	v_pk_add_f16 v102, v39, v110
	v_add_f16_e32 v39, v123, v121
	v_add_f16_e32 v40, v124, v122
	v_pack_b32_f16 v40, v39, v40
	v_pk_add_f16 v39, v101, v102
	ds_write2_b64 v81, v[39:40], v[37:38] offset1:1
	v_sub_f16_e32 v37, v123, v121
	v_sub_f16_e32 v39, v124, v122
	v_pack_b32_f16 v37, v37, v39
	v_fma_f16 v39, v93, s12, v99
	v_fma_f16 v39, v77, s13, v39
	v_sub_f16_e32 v38, v84, v114
	v_sub_f16_e32 v40, v83, v117
	v_fma_f16 v77, v82, s14, v39
	v_fma_f16 v39, v97, s16, v86
	v_pack_b32_f16 v38, v38, v40
	v_fma_f16 v39, v89, s15, v39
	v_fma_f16 v40, v115, s16, v100
	;; [unrolled: 1-line block ×8, first 2 shown]
	v_mul_f16_e32 v83, 0xb8b4, v40
	v_mul_f16_e32 v40, 0xba79, v40
	v_fma_f16 v83, v39, s1, v83
	v_fma_f16 v84, v39, s13, v40
	v_add_f16_e32 v39, v77, v83
	v_add_f16_e32 v86, v82, v84
	v_pk_add_f16 v40, v101, v102 neg_lo:[0,1] neg_hi:[0,1]
	v_pack_b32_f16 v39, v39, v86
	ds_write2_b64 v81, v[39:40], v[37:38] offset0:2 offset1:3
	v_sub_f16_e32 v37, v95, v118
	v_sub_f16_e32 v38, v77, v83
	;; [unrolled: 1-line block ×4, first 2 shown]
	v_pack_b32_f16 v38, v38, v40
	v_pack_b32_f16 v37, v37, v39
	ds_write_b64 v81, v[37:38] offset:32
	v_pk_add_f16 v37, v96, v92
	v_pk_add_f16 v37, v37, v94
	;; [unrolled: 1-line block ×3, first 2 shown]
	v_add_f16_e32 v38, v94, v88
	v_sub_f16_sdwa v77, v94, v88 dst_sel:DWORD dst_unused:UNUSED_PAD src0_sel:WORD_1 src1_sel:WORD_1
	v_sub_f16_e32 v39, v92, v94
	v_sub_f16_e32 v40, v94, v92
	v_add_f16_sdwa v81, v94, v88 dst_sel:DWORD dst_unused:UNUSED_PAD src0_sel:WORD_1 src1_sel:WORD_1
	v_sub_f16_e32 v82, v94, v88
	v_sub_f16_sdwa v83, v92, v94 dst_sel:DWORD dst_unused:UNUSED_PAD src0_sel:WORD_1 src1_sel:WORD_1
	v_sub_f16_sdwa v84, v94, v92 dst_sel:DWORD dst_unused:UNUSED_PAD src0_sel:WORD_1 src1_sel:WORD_1
	v_sub_f16_sdwa v85, v92, v90 dst_sel:DWORD dst_unused:UNUSED_PAD src0_sel:WORD_1 src1_sel:WORD_1
	v_add_f16_e32 v86, v92, v90
	v_sub_f16_e32 v87, v92, v90
	v_add_f16_sdwa v89, v92, v90 dst_sel:DWORD dst_unused:UNUSED_PAD src0_sel:WORD_1 src1_sel:WORD_1
	v_sub_f16_e32 v91, v90, v88
	v_sub_f16_e32 v92, v88, v90
	v_sub_f16_sdwa v93, v90, v88 dst_sel:DWORD dst_unused:UNUSED_PAD src0_sel:WORD_1 src1_sel:WORD_1
	v_sub_f16_sdwa v88, v88, v90 dst_sel:DWORD dst_unused:UNUSED_PAD src0_sel:WORD_1 src1_sel:WORD_1
	v_pk_add_f16 v90, v37, v90
	v_pk_add_f16 v37, v103, v105
	;; [unrolled: 1-line block ×4, first 2 shown]
	v_add_f16_e32 v94, v107, v109
	v_sub_f16_sdwa v95, v107, v109 dst_sel:DWORD dst_unused:UNUSED_PAD src0_sel:WORD_1 src1_sel:WORD_1
	v_sub_f16_e32 v97, v105, v107
	v_sub_f16_e32 v98, v107, v105
	v_add_f16_sdwa v99, v107, v109 dst_sel:DWORD dst_unused:UNUSED_PAD src0_sel:WORD_1 src1_sel:WORD_1
	v_sub_f16_e32 v100, v107, v109
	v_sub_f16_sdwa v101, v105, v107 dst_sel:DWORD dst_unused:UNUSED_PAD src0_sel:WORD_1 src1_sel:WORD_1
	v_sub_f16_sdwa v102, v107, v105 dst_sel:DWORD dst_unused:UNUSED_PAD src0_sel:WORD_1 src1_sel:WORD_1
	;; [unrolled: 1-line block ×3, first 2 shown]
	v_add_f16_e32 v106, v105, v111
	v_sub_f16_e32 v107, v105, v111
	v_add_f16_sdwa v105, v105, v111 dst_sel:DWORD dst_unused:UNUSED_PAD src0_sel:WORD_1 src1_sel:WORD_1
	v_sub_f16_e32 v108, v111, v109
	v_sub_f16_e32 v110, v109, v111
	v_sub_f16_sdwa v112, v111, v109 dst_sel:DWORD dst_unused:UNUSED_PAD src0_sel:WORD_1 src1_sel:WORD_1
	v_sub_f16_sdwa v109, v109, v111 dst_sel:DWORD dst_unused:UNUSED_PAD src0_sel:WORD_1 src1_sel:WORD_1
	v_pk_add_f16 v111, v37, v111
	v_add_f16_e32 v37, v40, v92
	v_fma_f16 v40, v86, -0.5, v96
	v_fma_f16 v86, v77, s12, v40
	v_fma_f16 v40, v77, s16, v40
	;; [unrolled: 1-line block ×4, first 2 shown]
	v_lshrrev_b32_e32 v40, 16, v96
	v_fma_f16 v86, v85, s15, v86
	v_fma_f16 v113, v38, -0.5, v96
	v_fma_f16 v38, v89, -0.5, v40
	v_fma_f16 v86, v37, s14, v86
	v_add_f16_e32 v37, v84, v88
	v_fma_f16 v84, v82, s16, v38
	v_fma_f16 v38, v82, s12, v38
	;; [unrolled: 1-line block ×4, first 2 shown]
	v_fma_f16 v38, v106, -0.5, v103
	v_fma_f16 v84, v87, s13, v84
	v_fma_f16 v89, v95, s12, v38
	;; [unrolled: 1-line block ×3, first 2 shown]
	v_lshrrev_b32_e32 v96, 16, v103
	v_fma_f16 v84, v37, s14, v84
	v_add_f16_e32 v37, v98, v110
	v_fma_f16 v89, v104, s15, v89
	v_fma_f16 v38, v104, s13, v38
	v_fma_f16 v98, v105, -0.5, v96
	v_fma_f16 v89, v37, s14, v89
	v_fma_f16 v37, v37, s14, v38
	v_add_f16_e32 v38, v102, v109
	v_fma_f16 v102, v100, s16, v98
	v_fma_f16 v96, v99, -0.5, v96
	v_fma_f16 v94, v94, -0.5, v103
	v_fma_f16 v102, v107, s13, v102
	v_fma_f16 v98, v100, s12, v98
	v_fma_f16 v81, v81, -0.5, v40
	v_fma_f16 v40, v107, s12, v96
	v_fma_f16 v102, v38, s14, v102
	;; [unrolled: 1-line block ×3, first 2 shown]
	v_add_f16_e32 v91, v39, v91
	v_add_f16_e32 v83, v83, v93
	;; [unrolled: 1-line block ×4, first 2 shown]
	v_fma_f16 v39, v104, s16, v94
	v_fma_f16 v40, v100, s13, v40
	;; [unrolled: 1-line block ×3, first 2 shown]
	v_mul_f16_e32 v98, 0xbb9c, v102
	v_mul_f16_e32 v102, 0x34f2, v102
	v_fma_f16 v39, v95, s15, v39
	v_fma_f16 v40, v97, s14, v40
	;; [unrolled: 1-line block ×4, first 2 shown]
	v_mul_f16_e32 v102, 0xbb9c, v38
	v_mul_f16_e32 v38, 0xb4f2, v38
	v_fma_f16 v39, v93, s14, v39
	v_mul_f16_e32 v99, 0xb8b4, v40
	v_fma_f16 v102, v37, s0, v102
	v_fma_f16 v103, v37, s12, v38
	;; [unrolled: 1-line block ×3, first 2 shown]
	v_mul_f16_e32 v39, 0x38b4, v39
	v_add_f16_e32 v37, v92, v102
	v_add_f16_e32 v38, v88, v103
	v_fma_f16 v101, v40, s17, v39
	v_fma_f16 v39, v85, s16, v113
	v_pack_b32_f16 v38, v37, v38
	v_add_f16_e32 v37, v86, v98
	v_add_f16_e32 v105, v84, v89
	v_fma_f16 v39, v77, s15, v39
	v_pack_b32_f16 v37, v37, v105
	v_fma_f16 v105, v91, s14, v39
	v_fma_f16 v39, v87, s12, v81
	;; [unrolled: 1-line block ×4, first 2 shown]
	v_add_f16_e32 v39, v105, v99
	v_add_f16_e32 v40, v106, v101
	v_pack_b32_f16 v40, v39, v40
	v_pk_add_f16 v39, v90, v111
	ds_write2_b64 v79, v[39:40], v[37:38] offset1:1
	v_sub_f16_e32 v37, v105, v99
	v_sub_f16_e32 v39, v106, v101
	v_pack_b32_f16 v37, v37, v39
	v_fma_f16 v39, v85, s12, v113
	v_fma_f16 v39, v77, s13, v39
	v_sub_f16_e32 v38, v86, v98
	v_sub_f16_e32 v40, v84, v89
	v_fma_f16 v77, v91, s14, v39
	v_fma_f16 v39, v87, s16, v81
	v_pack_b32_f16 v38, v38, v40
	v_fma_f16 v39, v82, s15, v39
	v_fma_f16 v40, v107, s16, v96
	;; [unrolled: 1-line block ×8, first 2 shown]
	v_mul_f16_e32 v82, 0xb8b4, v40
	v_mul_f16_e32 v40, 0xba79, v40
	v_fma_f16 v82, v39, s1, v82
	v_fma_f16 v83, v39, s13, v40
	v_add_f16_e32 v39, v77, v82
	v_add_f16_e32 v84, v81, v83
	v_pk_add_f16 v40, v90, v111 neg_lo:[0,1] neg_hi:[0,1]
	v_pack_b32_f16 v39, v39, v84
	ds_write2_b64 v79, v[39:40], v[37:38] offset0:2 offset1:3
	v_sub_f16_e32 v37, v92, v102
	v_sub_f16_e32 v38, v77, v82
	;; [unrolled: 1-line block ×4, first 2 shown]
	v_pack_b32_f16 v38, v38, v40
	v_pack_b32_f16 v37, v37, v39
	ds_write_b64 v79, v[37:38] offset:32
	s_waitcnt lgkmcnt(0)
	; wave barrier
	s_waitcnt lgkmcnt(0)
	ds_read2_b32 v[37:38], v53 offset0:30 offset1:35
	ds_read2_b32 v[81:82], v53 offset0:60 offset1:65
	;; [unrolled: 1-line block ×5, first 2 shown]
	s_waitcnt lgkmcnt(4)
	v_lshrrev_b32_e32 v39, 16, v37
	v_mul_f16_sdwa v40, v4, v37 dst_sel:DWORD dst_unused:UNUSED_PAD src0_sel:WORD_1 src1_sel:DWORD
	v_fma_f16 v92, v4, v39, -v40
	v_mul_f16_sdwa v39, v4, v39 dst_sel:DWORD dst_unused:UNUSED_PAD src0_sel:WORD_1 src1_sel:DWORD
	v_fma_f16 v95, v4, v37, v39
	s_waitcnt lgkmcnt(3)
	v_lshrrev_b32_e32 v37, 16, v81
	v_mul_f16_sdwa v39, v5, v81 dst_sel:DWORD dst_unused:UNUSED_PAD src0_sel:WORD_1 src1_sel:DWORD
	v_fma_f16 v96, v5, v37, -v39
	v_mul_f16_sdwa v37, v5, v37 dst_sel:DWORD dst_unused:UNUSED_PAD src0_sel:WORD_1 src1_sel:DWORD
	v_fma_f16 v97, v5, v81, v37
	s_waitcnt lgkmcnt(2)
	v_lshrrev_b32_e32 v37, 16, v85
	v_mul_f16_sdwa v39, v6, v85 dst_sel:DWORD dst_unused:UNUSED_PAD src0_sel:WORD_1 src1_sel:DWORD
	v_fma_f16 v98, v6, v37, -v39
	v_mul_f16_sdwa v37, v6, v37 dst_sel:DWORD dst_unused:UNUSED_PAD src0_sel:WORD_1 src1_sel:DWORD
	ds_read2_b32 v[93:94], v53 offset0:70 offset1:75
	v_fma_f16 v99, v6, v85, v37
	s_waitcnt lgkmcnt(2)
	v_lshrrev_b32_e32 v37, 16, v87
	v_mul_f16_sdwa v39, v7, v87 dst_sel:DWORD dst_unused:UNUSED_PAD src0_sel:WORD_1 src1_sel:DWORD
	v_fma_f16 v100, v7, v37, -v39
	v_mul_f16_sdwa v37, v7, v37 dst_sel:DWORD dst_unused:UNUSED_PAD src0_sel:WORD_1 src1_sel:DWORD
	v_fma_f16 v101, v7, v87, v37
	s_waitcnt lgkmcnt(1)
	v_lshrrev_b32_e32 v39, 16, v89
	v_mul_f16_sdwa v37, v4, v89 dst_sel:DWORD dst_unused:UNUSED_PAD src0_sel:WORD_1 src1_sel:DWORD
	v_fma_f16 v37, v4, v39, -v37
	v_mul_f16_sdwa v39, v4, v39 dst_sel:DWORD dst_unused:UNUSED_PAD src0_sel:WORD_1 src1_sel:DWORD
	v_fma_f16 v39, v4, v89, v39
	s_waitcnt lgkmcnt(0)
	v_lshrrev_b32_e32 v4, 16, v93
	ds_read2_b32 v[109:110], v53 offset0:100 offset1:105
	v_mul_f16_sdwa v40, v5, v93 dst_sel:DWORD dst_unused:UNUSED_PAD src0_sel:WORD_1 src1_sel:DWORD
	v_fma_f16 v40, v5, v4, -v40
	v_mul_f16_sdwa v4, v5, v4 dst_sel:DWORD dst_unused:UNUSED_PAD src0_sel:WORD_1 src1_sel:DWORD
	v_fma_f16 v79, v5, v93, v4
	ds_read2_b32 v[4:5], v53 offset0:130 offset1:135
	s_waitcnt lgkmcnt(1)
	v_lshrrev_b32_e32 v77, 16, v109
	v_mul_f16_sdwa v81, v6, v109 dst_sel:DWORD dst_unused:UNUSED_PAD src0_sel:WORD_1 src1_sel:DWORD
	v_fma_f16 v81, v6, v77, -v81
	v_mul_f16_sdwa v77, v6, v77 dst_sel:DWORD dst_unused:UNUSED_PAD src0_sel:WORD_1 src1_sel:DWORD
	v_fma_f16 v83, v6, v109, v77
	s_waitcnt lgkmcnt(0)
	v_lshrrev_b32_e32 v6, 16, v4
	v_mul_f16_sdwa v77, v7, v4 dst_sel:DWORD dst_unused:UNUSED_PAD src0_sel:WORD_1 src1_sel:DWORD
	v_fma_f16 v84, v7, v6, -v77
	v_mul_f16_sdwa v6, v7, v6 dst_sel:DWORD dst_unused:UNUSED_PAD src0_sel:WORD_1 src1_sel:DWORD
	v_fma_f16 v85, v7, v4, v6
	v_lshrrev_b32_e32 v4, 16, v38
	v_mul_f16_sdwa v6, v0, v4 dst_sel:DWORD dst_unused:UNUSED_PAD src0_sel:WORD_1 src1_sel:DWORD
	v_fma_f16 v103, v0, v38, v6
	v_mul_f16_sdwa v6, v0, v38 dst_sel:DWORD dst_unused:UNUSED_PAD src0_sel:WORD_1 src1_sel:DWORD
	v_fma_f16 v102, v0, v4, -v6
	v_lshrrev_b32_e32 v4, 16, v82
	v_mul_f16_sdwa v6, v1, v4 dst_sel:DWORD dst_unused:UNUSED_PAD src0_sel:WORD_1 src1_sel:DWORD
	v_fma_f16 v105, v1, v82, v6
	v_mul_f16_sdwa v6, v1, v82 dst_sel:DWORD dst_unused:UNUSED_PAD src0_sel:WORD_1 src1_sel:DWORD
	v_fma_f16 v104, v1, v4, -v6
	;; [unrolled: 5-line block ×7, first 2 shown]
	v_lshrrev_b32_e32 v2, 16, v5
	ds_read2_b32 v[0:1], v53 offset0:50 offset1:55
	v_mul_f16_sdwa v4, v3, v2 dst_sel:DWORD dst_unused:UNUSED_PAD src0_sel:WORD_1 src1_sel:DWORD
	v_fma_f16 v94, v3, v5, v4
	v_mul_f16_sdwa v4, v3, v5 dst_sel:DWORD dst_unused:UNUSED_PAD src0_sel:WORD_1 src1_sel:DWORD
	ds_read2_b32 v[5:6], v53 offset0:80 offset1:85
	ds_read2_b32 v[110:111], v53 offset0:110 offset1:115
	v_fma_f16 v93, v3, v2, -v4
	s_waitcnt lgkmcnt(2)
	v_lshrrev_b32_e32 v2, 16, v0
	v_mul_f16_sdwa v3, v12, v0 dst_sel:DWORD dst_unused:UNUSED_PAD src0_sel:WORD_1 src1_sel:DWORD
	v_fma_f16 v4, v12, v2, -v3
	v_mul_f16_sdwa v2, v12, v2 dst_sel:DWORD dst_unused:UNUSED_PAD src0_sel:WORD_1 src1_sel:DWORD
	ds_read2_b32 v[112:113], v53 offset0:140 offset1:145
	v_fma_f16 v38, v12, v0, v2
	s_waitcnt lgkmcnt(2)
	v_lshrrev_b32_e32 v0, 16, v5
	v_mul_f16_sdwa v2, v13, v5 dst_sel:DWORD dst_unused:UNUSED_PAD src0_sel:WORD_1 src1_sel:DWORD
	v_fma_f16 v12, v13, v0, -v2
	v_mul_f16_sdwa v0, v13, v0 dst_sel:DWORD dst_unused:UNUSED_PAD src0_sel:WORD_1 src1_sel:DWORD
	v_fma_f16 v77, v13, v5, v0
	s_waitcnt lgkmcnt(1)
	v_lshrrev_b32_e32 v0, 16, v110
	v_mul_f16_sdwa v2, v14, v110 dst_sel:DWORD dst_unused:UNUSED_PAD src0_sel:WORD_1 src1_sel:DWORD
	v_fma_f16 v13, v14, v0, -v2
	v_mul_f16_sdwa v0, v14, v0 dst_sel:DWORD dst_unused:UNUSED_PAD src0_sel:WORD_1 src1_sel:DWORD
	;; [unrolled: 6-line block ×3, first 2 shown]
	v_fma_f16 v15, v15, v112, v0
	v_lshrrev_b32_e32 v0, 16, v1
	v_mul_f16_sdwa v2, v8, v0 dst_sel:DWORD dst_unused:UNUSED_PAD src0_sel:WORD_1 src1_sel:DWORD
	v_fma_f16 v3, v8, v1, v2
	v_mul_f16_sdwa v1, v8, v1 dst_sel:DWORD dst_unused:UNUSED_PAD src0_sel:WORD_1 src1_sel:DWORD
	v_fma_f16 v0, v8, v0, -v1
	v_lshrrev_b32_e32 v1, 16, v6
	v_mul_f16_sdwa v2, v9, v1 dst_sel:DWORD dst_unused:UNUSED_PAD src0_sel:WORD_1 src1_sel:DWORD
	v_fma_f16 v5, v9, v6, v2
	v_mul_f16_sdwa v2, v9, v6 dst_sel:DWORD dst_unused:UNUSED_PAD src0_sel:WORD_1 src1_sel:DWORD
	v_fma_f16 v1, v9, v1, -v2
	;; [unrolled: 5-line block ×3, first 2 shown]
	ds_read2_b32 v[9:10], v53 offset1:5
	v_lshrrev_b32_e32 v6, 16, v113
	v_mul_f16_sdwa v110, v11, v113 dst_sel:DWORD dst_unused:UNUSED_PAD src0_sel:WORD_1 src1_sel:DWORD
	v_mul_f16_sdwa v8, v11, v6 dst_sel:DWORD dst_unused:UNUSED_PAD src0_sel:WORD_1 src1_sel:DWORD
	v_fma_f16 v6, v11, v6, -v110
	v_add_f16_e32 v110, v95, v101
	s_waitcnt lgkmcnt(0)
	v_fma_f16 v112, v110, -0.5, v9
	v_add_f16_e32 v110, v105, v107
	v_fma_f16 v8, v11, v113, v8
	v_add_f16_e32 v11, v97, v99
	v_fma_f16 v113, v110, -0.5, v10
	v_add_f16_e32 v110, v103, v109
	v_lshrrev_b32_e32 v115, 16, v9
	v_fma_f16 v11, v11, -0.5, v9
	v_fma_f16 v114, v110, -0.5, v10
	v_add_f16_e32 v9, v9, v95
	v_add_f16_e32 v110, v115, v92
	;; [unrolled: 1-line block ×6, first 2 shown]
	v_lshrrev_b32_e32 v116, 16, v10
	v_add_f16_e32 v10, v10, v103
	v_add_f16_e32 v9, v9, v101
	;; [unrolled: 1-line block ×3, first 2 shown]
	v_pack_b32_f16 v117, v9, v110
	v_add_f16_e32 v9, v10, v105
	v_add_f16_e32 v10, v116, v102
	;; [unrolled: 1-line block ×7, first 2 shown]
	v_pack_b32_f16 v118, v9, v10
	ds_read2_b32 v[9:10], v53 offset0:10 offset1:15
	ds_read2_b32 v[110:111], v53 offset0:20 offset1:25
	s_waitcnt lgkmcnt(0)
	; wave barrier
	s_waitcnt lgkmcnt(0)
	ds_write2_b32 v53, v117, v118 offset1:5
	v_sub_f16_e32 v117, v95, v97
	v_sub_f16_e32 v118, v101, v99
	v_add_f16_e32 v117, v117, v118
	v_sub_f16_e32 v118, v92, v96
	v_sub_f16_e32 v119, v100, v98
	v_add_f16_e32 v118, v118, v119
	v_sub_f16_e32 v119, v103, v105
	v_sub_f16_e32 v120, v109, v107
	v_sub_f16_e32 v125, v95, v101
	v_sub_f16_e32 v127, v97, v99
	v_sub_f16_e32 v95, v97, v95
	v_sub_f16_e32 v97, v99, v101
	v_add_f16_e32 v119, v119, v120
	v_sub_f16_e32 v120, v102, v104
	v_sub_f16_e32 v121, v108, v106
	v_add_f16_e32 v124, v96, v98
	v_add_f16_e32 v95, v95, v97
	;; [unrolled: 1-line block ×4, first 2 shown]
	v_sub_f16_e32 v121, v92, v100
	v_sub_f16_e32 v123, v96, v98
	v_fma_f16 v124, v124, -0.5, v115
	v_fma_f16 v97, v97, -0.5, v115
	v_sub_f16_e32 v92, v96, v92
	v_sub_f16_e32 v96, v98, v100
	;; [unrolled: 1-line block ×4, first 2 shown]
	v_fma_f16 v122, v121, s16, v11
	v_fma_f16 v126, v125, s12, v124
	v_add_f16_e32 v92, v92, v96
	v_sub_f16_e32 v96, v105, v103
	v_sub_f16_e32 v98, v107, v109
	v_add_f16_e32 v99, v99, v100
	v_fma_f16 v100, v123, s12, v112
	v_fma_f16 v101, v127, s16, v97
	;; [unrolled: 1-line block ×4, first 2 shown]
	v_add_f16_e32 v96, v96, v98
	v_add_f16_e32 v98, v102, v108
	v_fma_f16 v100, v121, s15, v100
	v_fma_f16 v101, v125, s13, v101
	;; [unrolled: 1-line block ×4, first 2 shown]
	v_sub_f16_e32 v129, v104, v106
	v_sub_f16_e32 v133, v105, v107
	v_fma_f16 v98, v98, -0.5, v116
	v_fma_f16 v100, v95, s14, v100
	v_fma_f16 v101, v92, s14, v101
	v_pack_b32_f16 v122, v122, v126
	v_sub_f16_e32 v126, v102, v108
	v_sub_f16_e32 v131, v103, v109
	v_pack_b32_f16 v100, v100, v101
	v_fma_f16 v101, v129, s12, v114
	v_fma_f16 v102, v133, s16, v98
	;; [unrolled: 1-line block ×10, first 2 shown]
	v_pack_b32_f16 v101, v101, v102
	v_fma_f16 v97, v126, s13, v97
	ds_write2_b32 v53, v100, v101 offset0:20 offset1:25
	v_fma_f16 v100, v123, s16, v112
	v_fma_f16 v96, v96, s14, v97
	;; [unrolled: 1-line block ×5, first 2 shown]
	v_add_f16_e32 v130, v104, v106
	v_fma_f16 v95, v95, s14, v100
	v_fma_f16 v97, v99, s14, v97
	v_fma_f16 v130, v130, -0.5, v116
	v_pack_b32_f16 v92, v95, v92
	v_pack_b32_f16 v95, v96, v97
	ds_write2_b32 v53, v92, v95 offset0:30 offset1:35
	v_fma_f16 v11, v121, s12, v11
	v_fma_f16 v92, v125, s16, v124
	;; [unrolled: 1-line block ×12, first 2 shown]
	v_pack_b32_f16 v11, v11, v92
	v_pack_b32_f16 v92, v95, v96
	ds_write2_b32 v53, v11, v92 offset0:40 offset1:45
	v_add_f16_e32 v11, v79, v83
	v_add_f16_e32 v92, v39, v85
	v_lshrrev_b32_e32 v97, 16, v9
	v_fma_f16 v11, v11, -0.5, v9
	v_fma_f16 v92, v92, -0.5, v9
	v_add_f16_e32 v9, v9, v39
	v_add_f16_e32 v99, v97, v37
	;; [unrolled: 1-line block ×8, first 2 shown]
	v_lshrrev_b32_e32 v98, 16, v10
	v_add_f16_e32 v9, v9, v85
	v_add_f16_e32 v99, v99, v84
	v_fma_f16 v95, v95, -0.5, v10
	v_fma_f16 v96, v96, -0.5, v10
	v_add_f16_e32 v10, v10, v87
	v_pack_b32_f16 v9, v9, v99
	v_add_f16_e32 v99, v98, v86
	v_add_f16_e32 v10, v10, v89
	v_add_f16_e32 v99, v99, v88
	v_add_f16_e32 v10, v10, v91
	v_add_f16_e32 v99, v99, v90
	v_add_f16_e32 v10, v10, v94
	v_add_f16_e32 v99, v99, v93
	v_pack_b32_f16 v10, v10, v99
	ds_write2_b32 v53, v9, v10 offset0:50 offset1:55
	v_sub_f16_e32 v9, v39, v79
	v_sub_f16_e32 v10, v85, v83
	v_add_f16_e32 v9, v9, v10
	v_sub_f16_e32 v10, v37, v40
	v_sub_f16_e32 v99, v84, v81
	v_add_f16_e32 v10, v10, v99
	v_sub_f16_e32 v99, v87, v89
	v_sub_f16_e32 v100, v94, v91
	;; [unrolled: 1-line block ×6, first 2 shown]
	v_add_f16_e32 v99, v99, v100
	v_sub_f16_e32 v100, v86, v88
	v_sub_f16_e32 v101, v93, v90
	v_add_f16_e32 v104, v40, v81
	v_add_f16_e32 v39, v39, v79
	;; [unrolled: 1-line block ×4, first 2 shown]
	v_sub_f16_e32 v101, v37, v84
	v_sub_f16_e32 v103, v40, v81
	v_fma_f16 v104, v104, -0.5, v97
	v_fma_f16 v79, v79, -0.5, v97
	v_sub_f16_e32 v37, v40, v37
	v_sub_f16_e32 v40, v81, v84
	;; [unrolled: 1-line block ×4, first 2 shown]
	v_fma_f16 v102, v101, s16, v11
	v_fma_f16 v106, v105, s12, v104
	v_add_f16_e32 v37, v37, v40
	v_sub_f16_e32 v40, v89, v87
	v_sub_f16_e32 v81, v91, v94
	v_add_f16_e32 v83, v83, v84
	v_fma_f16 v84, v103, s12, v92
	v_fma_f16 v85, v107, s16, v79
	;; [unrolled: 1-line block ×4, first 2 shown]
	v_add_f16_e32 v40, v40, v81
	v_add_f16_e32 v81, v86, v93
	v_fma_f16 v84, v101, s15, v84
	v_fma_f16 v85, v105, s13, v85
	;; [unrolled: 1-line block ×4, first 2 shown]
	v_sub_f16_e32 v109, v88, v90
	v_sub_f16_e32 v115, v89, v91
	v_fma_f16 v81, v81, -0.5, v98
	v_fma_f16 v84, v39, s14, v84
	v_fma_f16 v85, v37, s14, v85
	;; [unrolled: 1-line block ×3, first 2 shown]
	v_pack_b32_f16 v102, v102, v106
	v_sub_f16_e32 v106, v86, v93
	v_sub_f16_e32 v113, v87, v94
	v_pack_b32_f16 v84, v84, v85
	v_fma_f16 v85, v109, s12, v96
	v_fma_f16 v86, v115, s16, v81
	;; [unrolled: 1-line block ×10, first 2 shown]
	v_pack_b32_f16 v85, v85, v86
	v_fma_f16 v79, v106, s13, v79
	ds_write2_b32 v53, v84, v85 offset0:70 offset1:75
	v_fma_f16 v84, v103, s16, v92
	v_fma_f16 v40, v40, s14, v79
	;; [unrolled: 1-line block ×7, first 2 shown]
	v_add_f16_e32 v112, v88, v90
	v_fma_f16 v39, v39, s14, v84
	v_fma_f16 v79, v83, s14, v79
	;; [unrolled: 1-line block ×4, first 2 shown]
	v_fma_f16 v112, v112, -0.5, v98
	v_pack_b32_f16 v37, v39, v37
	v_pack_b32_f16 v39, v40, v79
	v_fma_f16 v11, v107, s15, v11
	ds_write2_b32 v53, v37, v39 offset0:80 offset1:85
	v_fma_f16 v10, v10, s14, v11
	v_fma_f16 v11, v106, s12, v95
	;; [unrolled: 1-line block ×7, first 2 shown]
	v_pack_b32_f16 v9, v9, v10
	v_pack_b32_f16 v10, v11, v37
	ds_write2_b32 v53, v9, v10 offset0:90 offset1:95
	v_sub_f16_e32 v9, v38, v77
	v_sub_f16_e32 v10, v15, v82
	v_add_f16_e32 v9, v9, v10
	v_add_f16_e32 v10, v77, v82
	v_fma_f16 v10, v10, -0.5, v110
	v_sub_f16_e32 v11, v4, v14
	v_fma_f16 v37, v11, s16, v10
	v_sub_f16_e32 v39, v12, v13
	v_fma_f16 v10, v11, s12, v10
	v_fma_f16 v37, v39, s15, v37
	;; [unrolled: 1-line block ×5, first 2 shown]
	v_sub_f16_e32 v10, v77, v38
	v_sub_f16_e32 v40, v82, v15
	v_add_f16_e32 v10, v10, v40
	v_add_f16_e32 v40, v38, v15
	v_fma_f16 v40, v40, -0.5, v110
	v_fma_f16 v79, v39, s12, v40
	v_fma_f16 v39, v39, s16, v40
	;; [unrolled: 1-line block ×6, first 2 shown]
	v_add_f16_e32 v11, v110, v38
	v_add_f16_e32 v11, v11, v77
	;; [unrolled: 1-line block ×4, first 2 shown]
	v_sub_f16_e32 v15, v38, v15
	v_sub_f16_e32 v38, v77, v82
	;; [unrolled: 1-line block ×4, first 2 shown]
	v_add_f16_e32 v40, v40, v77
	v_lshrrev_b32_e32 v77, 16, v110
	v_add_f16_e32 v79, v12, v13
	v_fma_f16 v79, v79, -0.5, v77
	v_fma_f16 v81, v15, s12, v79
	v_fma_f16 v79, v15, s16, v79
	;; [unrolled: 1-line block ×6, first 2 shown]
	v_add_f16_e32 v79, v4, v14
	v_fma_f16 v79, v79, -0.5, v77
	v_add_f16_e32 v77, v77, v4
	v_add_f16_e32 v77, v77, v12
	v_sub_f16_e32 v4, v12, v4
	v_add_f16_e32 v12, v77, v13
	v_sub_f16_e32 v13, v13, v14
	v_add_f16_e32 v12, v12, v14
	v_add_f16_e32 v4, v4, v13
	v_fma_f16 v13, v38, s16, v79
	v_fma_f16 v14, v38, s12, v79
	;; [unrolled: 1-line block ×6, first 2 shown]
	v_add_f16_e32 v14, v5, v7
	v_sub_f16_e32 v79, v3, v5
	v_sub_f16_e32 v82, v8, v7
	v_fma_f16 v14, v14, -0.5, v111
	v_add_f16_e32 v77, v111, v3
	v_add_f16_e32 v79, v79, v82
	v_sub_f16_e32 v82, v0, v6
	v_fma_f16 v83, v82, s16, v14
	v_sub_f16_e32 v84, v1, v2
	v_fma_f16 v14, v82, s12, v14
	v_add_f16_e32 v77, v77, v5
	v_add_f16_e32 v15, v3, v8
	v_fma_f16 v83, v84, s15, v83
	v_fma_f16 v14, v84, s13, v14
	v_add_f16_e32 v77, v77, v7
	v_fma_f16 v15, v15, -0.5, v111
	v_fma_f16 v83, v79, s14, v83
	v_fma_f16 v14, v79, s14, v14
	v_sub_f16_e32 v79, v5, v3
	v_sub_f16_e32 v85, v7, v8
	v_add_f16_e32 v77, v77, v8
	v_sub_f16_e32 v3, v3, v8
	v_sub_f16_e32 v5, v5, v7
	;; [unrolled: 1-line block ×4, first 2 shown]
	v_lshrrev_b32_e32 v38, 16, v111
	v_add_f16_e32 v79, v79, v85
	v_fma_f16 v85, v84, s12, v15
	v_fma_f16 v15, v84, s16, v15
	v_add_f16_e32 v7, v7, v8
	v_add_f16_e32 v8, v1, v2
	v_fma_f16 v84, v82, s15, v85
	v_fma_f16 v15, v82, s13, v15
	v_fma_f16 v8, v8, -0.5, v38
	v_fma_f16 v82, v79, s14, v84
	v_fma_f16 v15, v79, s14, v15
	;; [unrolled: 1-line block ×8, first 2 shown]
	v_add_f16_e32 v8, v0, v6
	v_fma_f16 v8, v8, -0.5, v38
	v_add_f16_e32 v38, v38, v0
	v_add_f16_e32 v38, v38, v1
	v_fma_f16 v132, v131, s12, v130
	v_fma_f16 v108, v106, s16, v95
	;; [unrolled: 1-line block ×3, first 2 shown]
	v_sub_f16_e32 v0, v1, v0
	v_add_f16_e32 v1, v38, v2
	v_sub_f16_e32 v2, v2, v6
	v_fma_f16 v128, v129, s15, v128
	v_fma_f16 v132, v133, s13, v132
	;; [unrolled: 1-line block ×4, first 2 shown]
	v_add_f16_e32 v0, v0, v2
	v_fma_f16 v2, v5, s16, v8
	v_fma_f16 v5, v5, s12, v8
	;; [unrolled: 1-line block ×8, first 2 shown]
	v_pack_b32_f16 v128, v128, v132
	v_pack_b32_f16 v108, v108, v114
	v_fma_f16 v2, v0, s14, v2
	v_fma_f16 v0, v0, s14, v3
	v_pack_b32_f16 v3, v11, v12
	v_pack_b32_f16 v5, v37, v81
	ds_write2_b32 v53, v122, v128 offset0:10 offset1:15
	ds_write2_b32 v53, v102, v108 offset0:60 offset1:65
	;; [unrolled: 1-line block ×3, first 2 shown]
	v_pack_b32_f16 v3, v39, v13
	v_pack_b32_f16 v4, v10, v4
	v_add_f16_e32 v1, v1, v6
	ds_write2_b32 v78, v3, v4 offset0:120 offset1:130
	v_pack_b32_f16 v3, v9, v40
	ds_write_b32 v78, v3 offset:560
	v_pack_b32_f16 v1, v77, v1
	v_pack_b32_f16 v3, v83, v79
	ds_write2_b32 v80, v1, v3 offset0:100 offset1:110
	v_pack_b32_f16 v1, v82, v2
	v_pack_b32_f16 v0, v15, v0
	ds_write2_b32 v80, v1, v0 offset0:120 offset1:130
	v_pack_b32_f16 v0, v14, v7
	ds_write_b32 v80, v0 offset:560
	s_waitcnt lgkmcnt(0)
	; wave barrier
	s_waitcnt lgkmcnt(0)
	ds_read2_b32 v[0:1], v53 offset0:50 offset1:55
	ds_read2_b32 v[2:3], v53 offset0:100 offset1:105
	;; [unrolled: 1-line block ×6, first 2 shown]
	s_mul_hi_u32 s12, s8, 0x78
	s_waitcnt lgkmcnt(5)
	v_lshrrev_b32_e32 v12, 16, v0
	v_mul_f16_sdwa v77, v19, v12 dst_sel:DWORD dst_unused:UNUSED_PAD src0_sel:WORD_1 src1_sel:DWORD
	v_fma_f16 v77, v19, v0, v77
	v_mul_f16_sdwa v0, v19, v0 dst_sel:DWORD dst_unused:UNUSED_PAD src0_sel:WORD_1 src1_sel:DWORD
	s_waitcnt lgkmcnt(4)
	v_lshrrev_b32_e32 v13, 16, v2
	v_fma_f16 v12, v19, v12, -v0
	v_mul_f16_sdwa v0, v20, v2 dst_sel:DWORD dst_unused:UNUSED_PAD src0_sel:WORD_1 src1_sel:DWORD
	v_lshrrev_b32_e32 v14, 16, v1
	v_fma_f16 v19, v20, v13, -v0
	v_mul_f16_sdwa v0, v20, v13 dst_sel:DWORD dst_unused:UNUSED_PAD src0_sel:WORD_1 src1_sel:DWORD
	v_fma_f16 v13, v20, v2, v0
	v_mul_f16_sdwa v0, v17, v14 dst_sel:DWORD dst_unused:UNUSED_PAD src0_sel:WORD_1 src1_sel:DWORD
	v_lshrrev_b32_e32 v15, 16, v3
	v_fma_f16 v78, v17, v1, v0
	v_mul_f16_sdwa v0, v17, v1 dst_sel:DWORD dst_unused:UNUSED_PAD src0_sel:WORD_1 src1_sel:DWORD
	v_fma_f16 v14, v17, v14, -v0
	v_mul_f16_sdwa v0, v18, v15 dst_sel:DWORD dst_unused:UNUSED_PAD src0_sel:WORD_1 src1_sel:DWORD
	s_waitcnt lgkmcnt(3)
	v_lshrrev_b32_e32 v37, 16, v4
	v_fma_f16 v17, v18, v3, v0
	v_mul_f16_sdwa v0, v18, v3 dst_sel:DWORD dst_unused:UNUSED_PAD src0_sel:WORD_1 src1_sel:DWORD
	v_fma_f16 v15, v18, v15, -v0
	v_mul_f16_sdwa v0, v21, v37 dst_sel:DWORD dst_unused:UNUSED_PAD src0_sel:WORD_1 src1_sel:DWORD
	v_fma_f16 v81, v21, v4, v0
	v_mul_f16_sdwa v0, v21, v4 dst_sel:DWORD dst_unused:UNUSED_PAD src0_sel:WORD_1 src1_sel:DWORD
	s_waitcnt lgkmcnt(2)
	v_lshrrev_b32_e32 v38, 16, v6
	v_fma_f16 v21, v21, v37, -v0
	v_mul_f16_sdwa v0, v22, v6 dst_sel:DWORD dst_unused:UNUSED_PAD src0_sel:WORD_1 src1_sel:DWORD
	v_lshrrev_b32_e32 v39, 16, v5
	v_fma_f16 v37, v22, v38, -v0
	v_mul_f16_sdwa v0, v22, v38 dst_sel:DWORD dst_unused:UNUSED_PAD src0_sel:WORD_1 src1_sel:DWORD
	v_lshrrev_b32_e32 v40, 16, v7
	v_fma_f16 v22, v22, v6, v0
	v_mul_f16_sdwa v0, v23, v39 dst_sel:DWORD dst_unused:UNUSED_PAD src0_sel:WORD_1 src1_sel:DWORD
	v_mul_f16_sdwa v2, v23, v5 dst_sel:DWORD dst_unused:UNUSED_PAD src0_sel:WORD_1 src1_sel:DWORD
	s_waitcnt lgkmcnt(1)
	v_lshrrev_b32_e32 v20, 16, v8
	v_fma_f16 v38, v23, v5, v0
	ds_read2_b32 v[0:1], v53 offset0:80 offset1:85
	v_fma_f16 v23, v23, v39, -v2
	v_mul_f16_sdwa v2, v24, v40 dst_sel:DWORD dst_unused:UNUSED_PAD src0_sel:WORD_1 src1_sel:DWORD
	v_lshrrev_b32_e32 v80, 16, v9
	v_fma_f16 v39, v24, v7, v2
	v_mul_f16_sdwa v2, v24, v7 dst_sel:DWORD dst_unused:UNUSED_PAD src0_sel:WORD_1 src1_sel:DWORD
	v_mul_f16_sdwa v4, v25, v20 dst_sel:DWORD dst_unused:UNUSED_PAD src0_sel:WORD_1 src1_sel:DWORD
	v_fma_f16 v24, v24, v40, -v2
	v_fma_f16 v40, v25, v8, v4
	v_mul_f16_sdwa v4, v25, v8 dst_sel:DWORD dst_unused:UNUSED_PAD src0_sel:WORD_1 src1_sel:DWORD
	v_mul_f16_sdwa v5, v27, v80 dst_sel:DWORD dst_unused:UNUSED_PAD src0_sel:WORD_1 src1_sel:DWORD
	s_waitcnt lgkmcnt(1)
	v_lshrrev_b32_e32 v79, 16, v10
	v_lshrrev_b32_e32 v18, 16, v11
	ds_read2_b32 v[2:3], v53 offset0:130 offset1:135
	v_fma_f16 v8, v25, v20, -v4
	v_mul_f16_sdwa v4, v26, v10 dst_sel:DWORD dst_unused:UNUSED_PAD src0_sel:WORD_1 src1_sel:DWORD
	v_fma_f16 v25, v27, v9, v5
	v_mul_f16_sdwa v5, v27, v9 dst_sel:DWORD dst_unused:UNUSED_PAD src0_sel:WORD_1 src1_sel:DWORD
	v_fma_f16 v20, v26, v79, -v4
	v_mul_f16_sdwa v4, v26, v79 dst_sel:DWORD dst_unused:UNUSED_PAD src0_sel:WORD_1 src1_sel:DWORD
	v_fma_f16 v9, v27, v80, -v5
	v_mul_f16_sdwa v5, v28, v18 dst_sel:DWORD dst_unused:UNUSED_PAD src0_sel:WORD_1 src1_sel:DWORD
	v_fma_f16 v10, v26, v10, v4
	s_waitcnt lgkmcnt(1)
	v_lshrrev_b32_e32 v4, 16, v0
	v_fma_f16 v26, v28, v11, v5
	v_mul_f16_sdwa v5, v28, v11 dst_sel:DWORD dst_unused:UNUSED_PAD src0_sel:WORD_1 src1_sel:DWORD
	v_fma_f16 v11, v28, v18, -v5
	v_mul_f16_sdwa v18, v29, v4 dst_sel:DWORD dst_unused:UNUSED_PAD src0_sel:WORD_1 src1_sel:DWORD
	v_fma_f16 v18, v29, v0, v18
	v_mul_f16_sdwa v0, v29, v0 dst_sel:DWORD dst_unused:UNUSED_PAD src0_sel:WORD_1 src1_sel:DWORD
	s_waitcnt lgkmcnt(0)
	v_lshrrev_b32_e32 v6, 16, v2
	v_fma_f16 v27, v29, v4, -v0
	v_mul_f16_sdwa v0, v30, v2 dst_sel:DWORD dst_unused:UNUSED_PAD src0_sel:WORD_1 src1_sel:DWORD
	v_lshrrev_b32_e32 v7, 16, v1
	v_fma_f16 v28, v30, v6, -v0
	v_mul_f16_sdwa v0, v30, v6 dst_sel:DWORD dst_unused:UNUSED_PAD src0_sel:WORD_1 src1_sel:DWORD
	v_lshrrev_b32_e32 v5, 16, v3
	v_fma_f16 v29, v30, v2, v0
	v_mul_f16_sdwa v0, v31, v7 dst_sel:DWORD dst_unused:UNUSED_PAD src0_sel:WORD_1 src1_sel:DWORD
	v_mul_f16_sdwa v2, v31, v1 dst_sel:DWORD dst_unused:UNUSED_PAD src0_sel:WORD_1 src1_sel:DWORD
	v_fma_f16 v30, v31, v1, v0
	ds_read2_b32 v[0:1], v53 offset0:90 offset1:95
	v_fma_f16 v31, v31, v7, -v2
	v_mul_f16_sdwa v2, v32, v5 dst_sel:DWORD dst_unused:UNUSED_PAD src0_sel:WORD_1 src1_sel:DWORD
	v_fma_f16 v79, v32, v3, v2
	v_mul_f16_sdwa v2, v32, v3 dst_sel:DWORD dst_unused:UNUSED_PAD src0_sel:WORD_1 src1_sel:DWORD
	v_fma_f16 v32, v32, v5, -v2
	ds_read2_b32 v[2:3], v53 offset0:140 offset1:145
	s_waitcnt lgkmcnt(1)
	v_lshrrev_b32_e32 v4, 16, v0
	v_mul_f16_sdwa v5, v33, v0 dst_sel:DWORD dst_unused:UNUSED_PAD src0_sel:WORD_1 src1_sel:DWORD
	v_fma_f16 v80, v33, v4, -v5
	v_mul_f16_sdwa v4, v33, v4 dst_sel:DWORD dst_unused:UNUSED_PAD src0_sel:WORD_1 src1_sel:DWORD
	v_fma_f16 v33, v33, v0, v4
	s_waitcnt lgkmcnt(0)
	v_lshrrev_b32_e32 v0, 16, v2
	v_mul_f16_sdwa v4, v34, v2 dst_sel:DWORD dst_unused:UNUSED_PAD src0_sel:WORD_1 src1_sel:DWORD
	v_fma_f16 v82, v34, v0, -v4
	v_mul_f16_sdwa v0, v34, v0 dst_sel:DWORD dst_unused:UNUSED_PAD src0_sel:WORD_1 src1_sel:DWORD
	v_fma_f16 v34, v34, v2, v0
	v_lshrrev_b32_e32 v0, 16, v1
	v_mul_f16_sdwa v2, v35, v0 dst_sel:DWORD dst_unused:UNUSED_PAD src0_sel:WORD_1 src1_sel:DWORD
	v_fma_f16 v83, v35, v1, v2
	v_mul_f16_sdwa v1, v35, v1 dst_sel:DWORD dst_unused:UNUSED_PAD src0_sel:WORD_1 src1_sel:DWORD
	v_fma_f16 v35, v35, v0, -v1
	ds_read2_b32 v[0:1], v53 offset1:5
	v_lshrrev_b32_e32 v2, 16, v3
	v_mul_f16_sdwa v4, v36, v2 dst_sel:DWORD dst_unused:UNUSED_PAD src0_sel:WORD_1 src1_sel:DWORD
	v_fma_f16 v84, v36, v3, v4
	v_mul_f16_sdwa v3, v36, v3 dst_sel:DWORD dst_unused:UNUSED_PAD src0_sel:WORD_1 src1_sel:DWORD
	v_fma_f16 v36, v36, v2, -v3
	v_add_f16_e32 v2, v77, v13
	s_waitcnt lgkmcnt(0)
	v_fma_f16 v2, v2, -0.5, v0
	v_sub_f16_e32 v3, v12, v19
	v_fma_f16 v4, v3, s19, v2
	v_fma_f16 v85, v3, s18, v2
	v_lshrrev_b32_e32 v2, 16, v0
	v_add_f16_e32 v5, v12, v19
	v_add_f16_e32 v3, v2, v12
	v_fma_f16 v2, v5, -0.5, v2
	v_sub_f16_e32 v5, v77, v13
	v_add_f16_e32 v0, v0, v77
	v_fma_f16 v12, v5, s19, v2
	v_add_f16_e32 v3, v3, v19
	v_add_f16_e32 v0, v0, v13
	v_fma_f16 v6, v5, s18, v2
	v_add_f16_e32 v2, v78, v17
	v_lshrrev_b32_e32 v19, 16, v1
	v_add_f16_e32 v77, v1, v78
	v_pack_b32_f16 v12, v85, v12
	v_fma_f16 v13, v2, -0.5, v1
	v_pack_b32_f16 v86, v0, v3
	v_pack_b32_f16 v87, v4, v6
	ds_read2_b32 v[0:1], v53 offset0:10 offset1:15
	ds_read2_b32 v[2:3], v53 offset0:20 offset1:25
	;; [unrolled: 1-line block ×4, first 2 shown]
	ds_write_b32 v53, v12 offset:400
	v_add_f16_e32 v12, v77, v17
	v_add_f16_e32 v77, v19, v14
	;; [unrolled: 1-line block ×3, first 2 shown]
	v_pack_b32_f16 v12, v12, v77
	ds_write_b32 v53, v87 offset:200
	ds_write2_b32 v53, v86, v12 offset1:5
	v_sub_f16_e32 v12, v14, v15
	v_add_f16_e32 v14, v14, v15
	v_fma_f16 v14, v14, -0.5, v19
	v_sub_f16_e32 v15, v78, v17
	v_fma_f16 v17, v12, s19, v13
	v_fma_f16 v19, v15, s18, v14
	v_pack_b32_f16 v17, v17, v19
	v_add_f16_e32 v19, v81, v22
	s_waitcnt lgkmcnt(6)
	v_fma_f16 v19, v19, -0.5, v0
	v_sub_f16_e32 v85, v21, v37
	v_lshrrev_b32_e32 v77, 16, v0
	v_fma_f16 v86, v85, s19, v19
	v_fma_f16 v12, v12, s18, v13
	;; [unrolled: 1-line block ×3, first 2 shown]
	v_add_f16_e32 v0, v0, v81
	v_fma_f16 v14, v85, s18, v19
	v_add_f16_e32 v19, v38, v39
	v_add_f16_e32 v78, v21, v37
	v_sub_f16_e32 v87, v81, v22
	v_add_f16_e32 v0, v0, v22
	v_add_f16_e32 v15, v77, v21
	v_fma_f16 v19, v19, -0.5, v1
	v_lshrrev_b32_e32 v21, 16, v1
	v_sub_f16_e32 v22, v23, v24
	v_add_f16_e32 v15, v15, v37
	v_fma_f16 v37, v22, s19, v19
	v_fma_f16 v19, v22, s18, v19
	v_add_f16_e32 v22, v21, v23
	v_add_f16_e32 v23, v23, v24
	v_fma_f16 v21, v23, -0.5, v21
	v_sub_f16_e32 v23, v38, v39
	v_add_f16_e32 v22, v22, v24
	v_fma_f16 v24, v23, s18, v21
	v_fma_f16 v21, v23, s19, v21
	v_add_f16_e32 v23, v40, v10
	v_add_f16_e32 v1, v1, v38
	s_waitcnt lgkmcnt(5)
	v_fma_f16 v23, v23, -0.5, v2
	v_sub_f16_e32 v38, v8, v20
	v_add_f16_e32 v1, v1, v39
	v_fma_f16 v39, v38, s19, v23
	v_fma_f16 v23, v38, s18, v23
	v_lshrrev_b32_e32 v38, 16, v2
	v_fma_f16 v78, v78, -0.5, v77
	v_add_f16_e32 v77, v38, v8
	v_add_f16_e32 v8, v8, v20
	;; [unrolled: 1-line block ×3, first 2 shown]
	v_fma_f16 v8, v8, -0.5, v38
	v_add_f16_e32 v2, v2, v10
	v_sub_f16_e32 v10, v40, v10
	v_fma_f16 v88, v87, s18, v78
	v_add_f16_e32 v77, v77, v20
	v_fma_f16 v20, v10, s18, v8
	v_fma_f16 v8, v10, s19, v8
	v_add_f16_e32 v10, v25, v26
	v_pack_b32_f16 v86, v86, v88
	v_fma_f16 v10, v10, -0.5, v3
	v_lshrrev_b32_e32 v38, 16, v3
	v_sub_f16_e32 v40, v9, v11
	ds_write2_b32 v53, v17, v86 offset0:55 offset1:60
	v_fma_f16 v17, v87, s19, v78
	v_fma_f16 v78, v40, s19, v10
	v_fma_f16 v10, v40, s18, v10
	v_add_f16_e32 v40, v38, v9
	v_add_f16_e32 v9, v9, v11
	;; [unrolled: 1-line block ×3, first 2 shown]
	v_fma_f16 v9, v9, -0.5, v38
	v_sub_f16_e32 v11, v25, v26
	v_add_f16_e32 v3, v3, v25
	v_fma_f16 v25, v11, s18, v9
	v_fma_f16 v9, v11, s19, v9
	v_pack_b32_f16 v11, v12, v13
	v_pack_b32_f16 v12, v14, v17
	ds_write2_b32 v53, v11, v12 offset0:105 offset1:110
	v_add_f16_e32 v11, v18, v29
	s_waitcnt lgkmcnt(6)
	v_fma_f16 v11, v11, -0.5, v4
	v_sub_f16_e32 v12, v27, v28
	v_fma_f16 v13, v12, s19, v11
	v_fma_f16 v11, v12, s18, v11
	v_lshrrev_b32_e32 v12, 16, v4
	v_add_f16_e32 v17, v27, v28
	v_add_f16_e32 v14, v12, v27
	v_fma_f16 v12, v17, -0.5, v12
	v_sub_f16_e32 v17, v18, v29
	v_add_f16_e32 v4, v4, v18
	v_fma_f16 v18, v17, s18, v12
	v_fma_f16 v12, v17, s19, v12
	v_add_f16_e32 v17, v30, v79
	v_add_f16_e32 v3, v3, v26
	;; [unrolled: 1-line block ×3, first 2 shown]
	v_fma_f16 v17, v17, -0.5, v5
	v_lshrrev_b32_e32 v26, 16, v5
	v_sub_f16_e32 v27, v31, v32
	v_add_f16_e32 v29, v31, v32
	v_add_f16_e32 v14, v14, v28
	v_fma_f16 v28, v27, s19, v17
	v_fma_f16 v17, v27, s18, v17
	v_add_f16_e32 v27, v26, v31
	v_fma_f16 v26, v29, -0.5, v26
	v_sub_f16_e32 v29, v30, v79
	v_pack_b32_f16 v0, v0, v15
	v_pack_b32_f16 v1, v1, v22
	v_add_f16_e32 v5, v5, v30
	v_fma_f16 v30, v29, s18, v26
	v_fma_f16 v26, v29, s19, v26
	v_add_f16_e32 v29, v33, v34
	ds_write2_b32 v53, v0, v1 offset0:10 offset1:15
	v_pack_b32_f16 v0, v37, v24
	v_pack_b32_f16 v15, v39, v20
	s_waitcnt lgkmcnt(6)
	v_fma_f16 v29, v29, -0.5, v6
	v_sub_f16_e32 v31, v80, v82
	v_pack_b32_f16 v1, v19, v21
	ds_write2_b32 v53, v0, v15 offset0:65 offset1:70
	v_pack_b32_f16 v0, v23, v8
	v_add_f16_e32 v27, v27, v32
	v_add_f16_e32 v5, v5, v79
	v_fma_f16 v32, v31, s19, v29
	v_fma_f16 v29, v31, s18, v29
	v_lshrrev_b32_e32 v31, 16, v6
	v_add_f16_e32 v79, v80, v82
	v_pack_b32_f16 v2, v2, v77
	ds_write2_b32 v53, v1, v0 offset0:115 offset1:120
	v_pack_b32_f16 v0, v3, v40
	v_add_f16_e32 v38, v31, v80
	v_fma_f16 v31, v79, -0.5, v31
	v_add_f16_e32 v6, v6, v33
	v_sub_f16_e32 v33, v33, v34
	ds_write2_b32 v53, v2, v0 offset0:20 offset1:25
	v_pack_b32_f16 v0, v78, v25
	v_pack_b32_f16 v3, v13, v18
	v_add_f16_e32 v6, v6, v34
	v_fma_f16 v34, v33, s18, v31
	v_fma_f16 v31, v33, s19, v31
	v_add_f16_e32 v33, v83, v84
	v_pack_b32_f16 v1, v10, v9
	ds_write2_b32 v53, v0, v3 offset0:75 offset1:80
	v_pack_b32_f16 v0, v11, v12
	v_fma_f16 v33, v33, -0.5, v7
	v_lshrrev_b32_e32 v79, 16, v7
	v_sub_f16_e32 v80, v35, v36
	v_pack_b32_f16 v2, v4, v14
	ds_write2_b32 v53, v1, v0 offset0:125 offset1:130
	v_pack_b32_f16 v0, v5, v27
	v_add_f16_e32 v7, v7, v83
	v_fma_f16 v81, v80, s19, v33
	v_fma_f16 v33, v80, s18, v33
	v_add_f16_e32 v80, v79, v35
	v_add_f16_e32 v35, v35, v36
	ds_write2_b32 v53, v2, v0 offset0:30 offset1:35
	v_pack_b32_f16 v0, v28, v30
	v_pack_b32_f16 v3, v32, v34
	v_add_f16_e32 v38, v38, v82
	v_add_f16_e32 v80, v80, v36
	v_fma_f16 v35, v35, -0.5, v79
	v_add_f16_e32 v7, v7, v84
	v_sub_f16_e32 v36, v83, v84
	v_pack_b32_f16 v1, v17, v26
	ds_write2_b32 v53, v0, v3 offset0:85 offset1:90
	v_pack_b32_f16 v0, v29, v31
	v_fma_f16 v79, v36, s18, v35
	v_pack_b32_f16 v2, v6, v38
	ds_write2_b32 v53, v1, v0 offset0:135 offset1:140
	v_pack_b32_f16 v0, v7, v80
	v_fma_f16 v35, v36, s19, v35
	ds_write2_b32 v53, v2, v0 offset0:40 offset1:45
	v_pack_b32_f16 v0, v81, v79
	ds_write_b32 v53, v0 offset:380
	v_pack_b32_f16 v0, v33, v35
	ds_write_b32 v53, v0 offset:580
	s_waitcnt lgkmcnt(0)
	; wave barrier
	s_waitcnt lgkmcnt(0)
	ds_read2_b32 v[5:6], v53 offset1:5
	v_mad_u64_u32 v[2:3], s[0:1], s10, v16, 0
	v_mov_b32_e32 v15, 0x7c00
	s_movk_i32 s10, 0x40f
	s_waitcnt lgkmcnt(0)
	v_lshrrev_b32_e32 v4, 16, v5
	v_mul_f16_sdwa v0, v76, v4 dst_sel:DWORD dst_unused:UNUSED_PAD src0_sel:WORD_1 src1_sel:DWORD
	v_fma_f16 v0, v76, v5, v0
	v_cvt_f32_f16_e32 v0, v0
	v_mul_f16_sdwa v5, v76, v5 dst_sel:DWORD dst_unused:UNUSED_PAD src0_sel:WORD_1 src1_sel:DWORD
	s_mul_i32 s13, s8, 0x78
	v_cvt_f64_f32_e32 v[0:1], v0
	v_mul_f64 v[7:8], v[0:1], s[2:3]
	v_mad_u64_u32 v[0:1], s[0:1], s11, v16, v[3:4]
	v_fma_f16 v4, v76, v4, -v5
	v_cvt_f32_f16_e32 v4, v4
	s_mov_b32 s11, 0x8000
	v_mov_b32_e32 v3, v0
	ds_read2_b32 v[0:1], v53 offset0:10 offset1:15
	v_and_or_b32 v7, v8, s6, v7
	v_cmp_ne_u32_e32 vcc, 0, v7
	v_cndmask_b32_e64 v7, 0, 1, vcc
	v_lshrrev_b32_e32 v9, 8, v8
	v_bfe_u32 v10, v8, 20, 11
	v_and_or_b32 v7, v9, s7, v7
	v_sub_u32_e32 v11, 0x3f1, v10
	v_or_b32_e32 v9, 0x1000, v7
	v_med3_i32 v11, v11, 0, 13
	v_lshrrev_b32_e32 v12, v11, v9
	v_lshlrev_b32_e32 v11, v11, v12
	v_cvt_f64_f32_e32 v[4:5], v4
	v_cmp_ne_u32_e32 vcc, v11, v9
	v_cndmask_b32_e64 v9, 0, 1, vcc
	v_add_u32_e32 v10, 0xfffffc10, v10
	v_or_b32_e32 v9, v12, v9
	v_lshl_or_b32 v11, v10, 12, v7
	v_cmp_gt_i32_e32 vcc, 1, v10
	v_cndmask_b32_e32 v9, v11, v9, vcc
	v_mul_f64 v[4:5], v[4:5], s[2:3]
	v_and_b32_e32 v11, 7, v9
	v_cmp_lt_i32_e32 vcc, 5, v11
	v_cmp_eq_u32_e64 s[0:1], 3, v11
	v_lshrrev_b32_e32 v9, 2, v9
	s_or_b64 vcc, s[0:1], vcc
	v_addc_co_u32_e32 v9, vcc, 0, v9, vcc
	v_cmp_gt_i32_e32 vcc, 31, v10
	v_cndmask_b32_e32 v9, v15, v9, vcc
	v_cmp_ne_u32_e32 vcc, 0, v7
	v_cndmask_b32_e64 v7, 0, 1, vcc
	v_lshl_or_b32 v7, v7, 9, v15
	v_cmp_eq_u32_e32 vcc, s10, v10
	v_and_or_b32 v4, v5, s6, v4
	v_cndmask_b32_e32 v7, v9, v7, vcc
	v_lshrrev_b32_e32 v8, 16, v8
	v_cmp_ne_u32_e32 vcc, 0, v4
	v_and_or_b32 v9, v8, s11, v7
	v_cndmask_b32_e64 v4, 0, 1, vcc
	v_lshrrev_b32_e32 v7, 8, v5
	v_bfe_u32 v8, v5, 20, 11
	v_and_or_b32 v4, v7, s7, v4
	v_sub_u32_e32 v10, 0x3f1, v8
	v_or_b32_e32 v7, 0x1000, v4
	v_med3_i32 v10, v10, 0, 13
	v_lshrrev_b32_e32 v11, v10, v7
	v_lshlrev_b32_e32 v10, v10, v11
	v_cmp_ne_u32_e32 vcc, v10, v7
	v_cndmask_b32_e64 v7, 0, 1, vcc
	v_add_u32_e32 v10, 0xfffffc10, v8
	v_or_b32_e32 v7, v11, v7
	v_lshl_or_b32 v8, v10, 12, v4
	v_cmp_gt_i32_e32 vcc, 1, v10
	v_cndmask_b32_e32 v7, v8, v7, vcc
	v_and_b32_e32 v8, 7, v7
	v_cmp_lt_i32_e32 vcc, 5, v8
	v_cmp_eq_u32_e64 s[0:1], 3, v8
	v_lshrrev_b32_e32 v7, 2, v7
	s_or_b64 vcc, s[0:1], vcc
	v_addc_co_u32_e32 v7, vcc, 0, v7, vcc
	v_cmp_gt_i32_e32 vcc, 31, v10
	v_cndmask_b32_e32 v11, v15, v7, vcc
	v_mad_u64_u32 v[7:8], s[0:1], s8, v75, 0
	v_cmp_ne_u32_e32 vcc, 0, v4
	v_cndmask_b32_e64 v4, 0, 1, vcc
	v_lshl_or_b32 v4, v4, 9, v15
	v_cmp_eq_u32_e32 vcc, s10, v10
	v_cndmask_b32_e32 v10, v11, v4, vcc
	v_mov_b32_e32 v4, v8
	v_lshrrev_b32_e32 v11, 16, v5
	v_mad_u64_u32 v[4:5], s[0:1], s9, v75, v[4:5]
	s_waitcnt lgkmcnt(0)
	v_lshrrev_b32_e32 v12, 16, v1
	v_mul_f16_sdwa v5, v74, v12 dst_sel:DWORD dst_unused:UNUSED_PAD src0_sel:WORD_1 src1_sel:DWORD
	v_fma_f16 v5, v74, v1, v5
	v_cvt_f32_f16_e32 v5, v5
	v_mov_b32_e32 v8, v4
	v_lshlrev_b64 v[2:3], 2, v[2:3]
	v_and_or_b32 v10, v11, s11, v10
	v_cvt_f64_f32_e32 v[4:5], v5
	v_and_b32_e32 v9, 0xffff, v9
	v_lshl_or_b32 v9, v10, 16, v9
	v_mov_b32_e32 v10, s5
	v_mul_f64 v[4:5], v[4:5], s[2:3]
	v_add_co_u32_e32 v16, vcc, s4, v2
	v_addc_co_u32_e32 v17, vcc, v10, v3, vcc
	v_lshlrev_b64 v[2:3], 2, v[7:8]
	v_mul_f16_sdwa v1, v74, v1 dst_sel:DWORD dst_unused:UNUSED_PAD src0_sel:WORD_1 src1_sel:DWORD
	v_add_co_u32_e32 v2, vcc, v16, v2
	v_addc_co_u32_e32 v3, vcc, v17, v3, vcc
	v_and_or_b32 v4, v5, s6, v4
	v_cmp_ne_u32_e32 vcc, 0, v4
	v_cndmask_b32_e64 v4, 0, 1, vcc
	v_lshrrev_b32_e32 v7, 8, v5
	v_bfe_u32 v8, v5, 20, 11
	global_store_dword v[2:3], v9, off
	v_and_or_b32 v4, v7, s7, v4
	v_sub_u32_e32 v9, 0x3f1, v8
	v_or_b32_e32 v7, 0x1000, v4
	v_med3_i32 v9, v9, 0, 13
	v_lshrrev_b32_e32 v10, v9, v7
	v_lshlrev_b32_e32 v9, v9, v10
	v_cmp_ne_u32_e32 vcc, v9, v7
	v_cndmask_b32_e64 v7, 0, 1, vcc
	v_fma_f16 v1, v74, v12, -v1
	v_or_b32_e32 v7, v10, v7
	v_add_u32_e32 v10, 0xfffffc10, v8
	v_cvt_f32_f16_e32 v1, v1
	v_lshl_or_b32 v8, v10, 12, v4
	v_cmp_gt_i32_e32 vcc, 1, v10
	v_cndmask_b32_e32 v7, v8, v7, vcc
	v_and_b32_e32 v8, 7, v7
	v_cmp_lt_i32_e32 vcc, 5, v8
	v_cmp_eq_u32_e64 s[0:1], 3, v8
	v_lshrrev_b32_e32 v9, 2, v7
	v_cvt_f64_f32_e32 v[7:8], v1
	s_or_b64 vcc, s[0:1], vcc
	v_addc_co_u32_e32 v1, vcc, 0, v9, vcc
	v_mul_f64 v[8:9], v[7:8], s[2:3]
	v_cmp_gt_i32_e32 vcc, 31, v10
	v_cndmask_b32_e32 v1, v15, v1, vcc
	v_cmp_ne_u32_e32 vcc, 0, v4
	v_cndmask_b32_e64 v4, 0, 1, vcc
	v_lshl_or_b32 v4, v4, 9, v15
	v_cmp_eq_u32_e32 vcc, s10, v10
	v_cndmask_b32_e32 v1, v1, v4, vcc
	v_lshrrev_b32_e32 v4, 16, v5
	v_and_or_b32 v1, v4, s11, v1
	v_and_or_b32 v4, v9, s6, v8
	v_cmp_ne_u32_e32 vcc, 0, v4
	v_cndmask_b32_e64 v4, 0, 1, vcc
	v_lshrrev_b32_e32 v5, 8, v9
	v_bfe_u32 v7, v9, 20, 11
	v_and_or_b32 v4, v5, s7, v4
	v_sub_u32_e32 v8, 0x3f1, v7
	v_or_b32_e32 v5, 0x1000, v4
	v_med3_i32 v8, v8, 0, 13
	v_lshrrev_b32_e32 v10, v8, v5
	v_lshlrev_b32_e32 v8, v8, v10
	v_cmp_ne_u32_e32 vcc, v8, v5
	v_cndmask_b32_e64 v5, 0, 1, vcc
	v_or_b32_e32 v5, v10, v5
	v_add_u32_e32 v10, 0xfffffc10, v7
	v_lshl_or_b32 v7, v10, 12, v4
	v_cmp_gt_i32_e32 vcc, 1, v10
	v_cndmask_b32_e32 v5, v7, v5, vcc
	v_and_b32_e32 v7, 7, v5
	v_cmp_lt_i32_e32 vcc, 5, v7
	v_cmp_eq_u32_e64 s[0:1], 3, v7
	v_lshrrev_b32_e32 v5, 2, v5
	s_or_b64 vcc, s[0:1], vcc
	ds_read2_b32 v[7:8], v53 offset0:30 offset1:35
	v_addc_co_u32_e32 v5, vcc, 0, v5, vcc
	v_cmp_gt_i32_e32 vcc, 31, v10
	v_cndmask_b32_e32 v5, v15, v5, vcc
	v_cmp_ne_u32_e32 vcc, 0, v4
	v_cndmask_b32_e64 v4, 0, 1, vcc
	v_lshl_or_b32 v4, v4, 9, v15
	v_cmp_eq_u32_e32 vcc, s10, v10
	s_waitcnt lgkmcnt(0)
	v_lshrrev_b32_e32 v11, 16, v7
	v_cndmask_b32_e32 v4, v5, v4, vcc
	v_lshrrev_b32_e32 v5, 16, v9
	v_mul_f16_sdwa v9, v73, v11 dst_sel:DWORD dst_unused:UNUSED_PAD src0_sel:WORD_1 src1_sel:DWORD
	v_fma_f16 v9, v73, v7, v9
	v_cvt_f32_f16_e32 v9, v9
	v_and_or_b32 v4, v5, s11, v4
	v_and_b32_e32 v1, 0xffff, v1
	v_lshl_or_b32 v1, v4, 16, v1
	v_cvt_f64_f32_e32 v[4:5], v9
	s_mul_i32 s0, s9, 60
	s_mul_hi_u32 s4, s8, 60
	s_add_i32 s4, s4, s0
	v_mul_f64 v[4:5], v[4:5], s[2:3]
	s_mul_i32 s5, s8, 60
	v_mov_b32_e32 v10, s4
	v_add_co_u32_e32 v9, vcc, s5, v2
	v_addc_co_u32_e32 v10, vcc, v3, v10, vcc
	global_store_dword v[9:10], v1, off
	v_and_or_b32 v1, v5, s6, v4
	v_cmp_ne_u32_e32 vcc, 0, v1
	v_cndmask_b32_e64 v1, 0, 1, vcc
	v_lshrrev_b32_e32 v2, 8, v5
	v_and_or_b32 v4, v2, s7, v1
	v_bfe_u32 v2, v5, 20, 11
	v_sub_u32_e32 v3, 0x3f1, v2
	v_or_b32_e32 v1, 0x1000, v4
	v_med3_i32 v3, v3, 0, 13
	v_lshrrev_b32_e32 v12, v3, v1
	v_lshlrev_b32_e32 v3, v3, v12
	v_cmp_ne_u32_e32 vcc, v3, v1
	v_mul_f16_sdwa v3, v73, v7 dst_sel:DWORD dst_unused:UNUSED_PAD src0_sel:WORD_1 src1_sel:DWORD
	v_cndmask_b32_e64 v1, 0, 1, vcc
	v_fma_f16 v3, v73, v11, -v3
	v_or_b32_e32 v1, v12, v1
	v_add_u32_e32 v12, 0xfffffc10, v2
	v_cvt_f32_f16_e32 v3, v3
	v_lshl_or_b32 v2, v12, 12, v4
	v_cmp_gt_i32_e32 vcc, 1, v12
	v_cndmask_b32_e32 v1, v2, v1, vcc
	v_and_b32_e32 v2, 7, v1
	v_cmp_lt_i32_e32 vcc, 5, v2
	v_cmp_eq_u32_e64 s[0:1], 3, v2
	v_lshrrev_b32_e32 v7, 2, v1
	v_cvt_f64_f32_e32 v[1:2], v3
	s_or_b64 vcc, s[0:1], vcc
	v_addc_co_u32_e32 v3, vcc, 0, v7, vcc
	v_cmp_gt_i32_e32 vcc, 31, v12
	v_cndmask_b32_e32 v7, v15, v3, vcc
	v_mul_f64 v[2:3], v[1:2], s[2:3]
	v_cmp_ne_u32_e32 vcc, 0, v4
	v_cndmask_b32_e64 v1, 0, 1, vcc
	v_lshl_or_b32 v1, v1, 9, v15
	v_cmp_eq_u32_e32 vcc, s10, v12
	v_cndmask_b32_e32 v1, v7, v1, vcc
	v_lshrrev_b32_e32 v4, 16, v5
	v_and_or_b32 v7, v4, s11, v1
	v_and_or_b32 v1, v3, s6, v2
	v_cmp_ne_u32_e32 vcc, 0, v1
	v_cndmask_b32_e64 v1, 0, 1, vcc
	v_lshrrev_b32_e32 v2, 8, v3
	v_and_or_b32 v4, v2, s7, v1
	v_bfe_u32 v2, v3, 20, 11
	v_sub_u32_e32 v5, 0x3f1, v2
	v_or_b32_e32 v1, 0x1000, v4
	v_med3_i32 v5, v5, 0, 13
	v_lshrrev_b32_e32 v11, v5, v1
	v_lshlrev_b32_e32 v5, v5, v11
	v_cmp_ne_u32_e32 vcc, v5, v1
	v_cndmask_b32_e64 v1, 0, 1, vcc
	v_add_u32_e32 v5, 0xfffffc10, v2
	v_or_b32_e32 v1, v11, v1
	v_lshl_or_b32 v2, v5, 12, v4
	v_cmp_gt_i32_e32 vcc, 1, v5
	v_cndmask_b32_e32 v1, v2, v1, vcc
	v_and_b32_e32 v2, 7, v1
	v_cmp_lt_i32_e32 vcc, 5, v2
	v_cmp_eq_u32_e64 s[0:1], 3, v2
	v_lshrrev_b32_e32 v1, 2, v1
	s_or_b64 vcc, s[0:1], vcc
	v_addc_co_u32_e32 v11, vcc, 0, v1, vcc
	ds_read2_b32 v[1:2], v53 offset0:40 offset1:45
	v_cmp_gt_i32_e32 vcc, 31, v5
	v_cndmask_b32_e32 v11, v15, v11, vcc
	v_cmp_ne_u32_e32 vcc, 0, v4
	v_cndmask_b32_e64 v4, 0, 1, vcc
	s_waitcnt lgkmcnt(0)
	v_lshrrev_b32_e32 v13, 16, v2
	v_mul_f16_sdwa v12, v71, v13 dst_sel:DWORD dst_unused:UNUSED_PAD src0_sel:WORD_1 src1_sel:DWORD
	v_fma_f16 v12, v71, v2, v12
	v_cvt_f32_f16_e32 v12, v12
	v_lshl_or_b32 v4, v4, 9, v15
	v_cmp_eq_u32_e32 vcc, s10, v5
	v_cndmask_b32_e32 v11, v11, v4, vcc
	v_cvt_f64_f32_e32 v[4:5], v12
	v_lshrrev_b32_e32 v3, 16, v3
	v_and_or_b32 v11, v3, s11, v11
	v_and_b32_e32 v7, 0xffff, v7
	v_mul_f64 v[3:4], v[4:5], s[2:3]
	v_lshl_or_b32 v5, v11, 16, v7
	v_mov_b32_e32 v7, s4
	v_add_co_u32_e32 v11, vcc, s5, v9
	v_addc_co_u32_e32 v12, vcc, v10, v7, vcc
	global_store_dword v[11:12], v5, off
	v_and_or_b32 v3, v4, s6, v3
	v_cmp_ne_u32_e32 vcc, 0, v3
	v_cndmask_b32_e64 v3, 0, 1, vcc
	v_lshrrev_b32_e32 v5, 8, v4
	v_bfe_u32 v7, v4, 20, 11
	v_and_or_b32 v5, v5, s7, v3
	v_sub_u32_e32 v9, 0x3f1, v7
	v_or_b32_e32 v3, 0x1000, v5
	v_med3_i32 v9, v9, 0, 13
	v_lshrrev_b32_e32 v10, v9, v3
	v_lshlrev_b32_e32 v9, v9, v10
	v_mul_f16_sdwa v2, v71, v2 dst_sel:DWORD dst_unused:UNUSED_PAD src0_sel:WORD_1 src1_sel:DWORD
	v_cmp_ne_u32_e32 vcc, v9, v3
	v_fma_f16 v2, v71, v13, -v2
	v_cndmask_b32_e64 v3, 0, 1, vcc
	v_add_u32_e32 v7, 0xfffffc10, v7
	v_cvt_f32_f16_e32 v2, v2
	v_or_b32_e32 v3, v10, v3
	v_lshl_or_b32 v9, v7, 12, v5
	v_cmp_gt_i32_e32 vcc, 1, v7
	v_cndmask_b32_e32 v3, v9, v3, vcc
	v_and_b32_e32 v9, 7, v3
	v_cmp_lt_i32_e32 vcc, 5, v9
	v_cmp_eq_u32_e64 s[0:1], 3, v9
	v_lshrrev_b32_e32 v9, 2, v3
	v_cvt_f64_f32_e32 v[2:3], v2
	s_or_b64 vcc, s[0:1], vcc
	v_addc_co_u32_e32 v9, vcc, 0, v9, vcc
	v_mul_f64 v[2:3], v[2:3], s[2:3]
	v_cmp_gt_i32_e32 vcc, 31, v7
	v_cndmask_b32_e32 v9, v15, v9, vcc
	v_cmp_ne_u32_e32 vcc, 0, v5
	v_cndmask_b32_e64 v5, 0, 1, vcc
	v_lshl_or_b32 v5, v5, 9, v15
	v_cmp_eq_u32_e32 vcc, s10, v7
	v_cndmask_b32_e32 v5, v9, v5, vcc
	v_and_or_b32 v2, v3, s6, v2
	v_lshrrev_b32_e32 v4, 16, v4
	v_cmp_ne_u32_e32 vcc, 0, v2
	v_and_or_b32 v7, v4, s11, v5
	v_cndmask_b32_e64 v2, 0, 1, vcc
	v_lshrrev_b32_e32 v4, 8, v3
	v_bfe_u32 v5, v3, 20, 11
	v_and_or_b32 v2, v4, s7, v2
	v_sub_u32_e32 v9, 0x3f1, v5
	v_or_b32_e32 v4, 0x1000, v2
	v_med3_i32 v9, v9, 0, 13
	v_lshrrev_b32_e32 v10, v9, v4
	v_lshlrev_b32_e32 v9, v9, v10
	v_cmp_ne_u32_e32 vcc, v9, v4
	v_cndmask_b32_e64 v4, 0, 1, vcc
	v_add_u32_e32 v5, 0xfffffc10, v5
	v_or_b32_e32 v4, v10, v4
	v_lshl_or_b32 v9, v5, 12, v2
	v_cmp_gt_i32_e32 vcc, 1, v5
	v_cndmask_b32_e32 v4, v9, v4, vcc
	v_and_b32_e32 v9, 7, v4
	v_cmp_lt_i32_e32 vcc, 5, v9
	v_cmp_eq_u32_e64 s[0:1], 3, v9
	ds_read2_b32 v[9:10], v53 offset0:60 offset1:65
	v_lshrrev_b32_e32 v4, 2, v4
	s_or_b64 vcc, s[0:1], vcc
	v_addc_co_u32_e32 v4, vcc, 0, v4, vcc
	s_waitcnt lgkmcnt(0)
	v_lshrrev_b32_e32 v13, 16, v9
	v_mul_f16_sdwa v14, v69, v13 dst_sel:DWORD dst_unused:UNUSED_PAD src0_sel:WORD_1 src1_sel:DWORD
	v_fma_f16 v14, v69, v9, v14
	v_cmp_gt_i32_e32 vcc, 31, v5
	v_cvt_f32_f16_e32 v14, v14
	v_cndmask_b32_e32 v4, v15, v4, vcc
	v_cmp_ne_u32_e32 vcc, 0, v2
	v_cndmask_b32_e64 v2, 0, 1, vcc
	v_lshl_or_b32 v2, v2, 9, v15
	v_cmp_eq_u32_e32 vcc, s10, v5
	v_cndmask_b32_e32 v2, v4, v2, vcc
	v_cvt_f64_f32_e32 v[4:5], v14
	v_lshrrev_b32_e32 v3, 16, v3
	v_and_or_b32 v14, v3, s11, v2
	v_and_b32_e32 v7, 0xffff, v7
	v_mul_f64 v[2:3], v[4:5], s[2:3]
	v_mov_b32_e32 v5, s4
	v_add_co_u32_e32 v4, vcc, s5, v11
	v_addc_co_u32_e32 v5, vcc, v12, v5, vcc
	v_lshl_or_b32 v7, v14, 16, v7
	global_store_dword v[4:5], v7, off
	v_and_or_b32 v2, v3, s6, v2
	v_cmp_ne_u32_e32 vcc, 0, v2
	v_cndmask_b32_e64 v2, 0, 1, vcc
	v_lshrrev_b32_e32 v7, 8, v3
	v_bfe_u32 v11, v3, 20, 11
	v_and_or_b32 v2, v7, s7, v2
	v_sub_u32_e32 v12, 0x3f1, v11
	v_or_b32_e32 v7, 0x1000, v2
	v_med3_i32 v12, v12, 0, 13
	v_lshrrev_b32_e32 v14, v12, v7
	v_lshlrev_b32_e32 v12, v12, v14
	v_cmp_ne_u32_e32 vcc, v12, v7
	v_mul_f16_sdwa v9, v69, v9 dst_sel:DWORD dst_unused:UNUSED_PAD src0_sel:WORD_1 src1_sel:DWORD
	v_cndmask_b32_e64 v7, 0, 1, vcc
	v_fma_f16 v9, v69, v13, -v9
	v_or_b32_e32 v7, v14, v7
	v_add_u32_e32 v14, 0xfffffc10, v11
	v_cvt_f32_f16_e32 v9, v9
	v_lshl_or_b32 v11, v14, 12, v2
	v_cmp_gt_i32_e32 vcc, 1, v14
	v_cndmask_b32_e32 v7, v11, v7, vcc
	v_and_b32_e32 v11, 7, v7
	v_cmp_lt_i32_e32 vcc, 5, v11
	v_cmp_eq_u32_e64 s[0:1], 3, v11
	v_cvt_f64_f32_e32 v[11:12], v9
	v_lshrrev_b32_e32 v7, 2, v7
	s_or_b64 vcc, s[0:1], vcc
	v_addc_co_u32_e32 v7, vcc, 0, v7, vcc
	v_mul_f64 v[11:12], v[11:12], s[2:3]
	v_cmp_gt_i32_e32 vcc, 31, v14
	v_cndmask_b32_e32 v7, v15, v7, vcc
	v_cmp_ne_u32_e32 vcc, 0, v2
	v_cndmask_b32_e64 v2, 0, 1, vcc
	v_lshl_or_b32 v2, v2, 9, v15
	v_cmp_eq_u32_e32 vcc, s10, v14
	v_cndmask_b32_e32 v2, v7, v2, vcc
	v_lshrrev_b32_e32 v3, 16, v3
	v_and_or_b32 v7, v3, s11, v2
	v_and_or_b32 v2, v12, s6, v11
	v_cmp_ne_u32_e32 vcc, 0, v2
	v_cndmask_b32_e64 v2, 0, 1, vcc
	v_lshrrev_b32_e32 v3, 8, v12
	v_and_or_b32 v9, v3, s7, v2
	v_bfe_u32 v3, v12, 20, 11
	v_sub_u32_e32 v11, 0x3f1, v3
	v_or_b32_e32 v2, 0x1000, v9
	v_med3_i32 v11, v11, 0, 13
	v_lshrrev_b32_e32 v13, v11, v2
	v_lshlrev_b32_e32 v11, v11, v13
	v_cmp_ne_u32_e32 vcc, v11, v2
	v_cndmask_b32_e64 v2, 0, 1, vcc
	v_add_u32_e32 v11, 0xfffffc10, v3
	v_or_b32_e32 v2, v13, v2
	v_lshl_or_b32 v3, v11, 12, v9
	v_cmp_gt_i32_e32 vcc, 1, v11
	v_cndmask_b32_e32 v2, v3, v2, vcc
	v_and_b32_e32 v3, 7, v2
	v_cmp_lt_i32_e32 vcc, 5, v3
	v_cmp_eq_u32_e64 s[0:1], 3, v3
	v_lshrrev_b32_e32 v2, 2, v2
	s_or_b64 vcc, s[0:1], vcc
	v_addc_co_u32_e32 v13, vcc, 0, v2, vcc
	ds_read2_b32 v[2:3], v53 offset0:70 offset1:75
	v_cmp_gt_i32_e32 vcc, 31, v11
	v_cndmask_b32_e32 v13, v15, v13, vcc
	v_cmp_ne_u32_e32 vcc, 0, v9
	v_cndmask_b32_e64 v9, 0, 1, vcc
	s_waitcnt lgkmcnt(0)
	v_lshrrev_b32_e32 v18, 16, v3
	v_mul_f16_sdwa v14, v67, v18 dst_sel:DWORD dst_unused:UNUSED_PAD src0_sel:WORD_1 src1_sel:DWORD
	v_fma_f16 v14, v67, v3, v14
	v_cvt_f32_f16_e32 v14, v14
	v_lshl_or_b32 v9, v9, 9, v15
	v_cmp_eq_u32_e32 vcc, s10, v11
	v_cndmask_b32_e32 v9, v13, v9, vcc
	v_cvt_f64_f32_e32 v[13:14], v14
	v_lshrrev_b32_e32 v11, 16, v12
	v_and_or_b32 v9, v11, s11, v9
	v_and_b32_e32 v7, 0xffff, v7
	v_mul_f64 v[11:12], v[13:14], s[2:3]
	v_lshl_or_b32 v7, v9, 16, v7
	v_mov_b32_e32 v9, s4
	v_add_co_u32_e32 v4, vcc, s5, v4
	v_addc_co_u32_e32 v5, vcc, v5, v9, vcc
	global_store_dword v[4:5], v7, off
	v_and_or_b32 v7, v12, s6, v11
	v_cmp_ne_u32_e32 vcc, 0, v7
	v_cndmask_b32_e64 v7, 0, 1, vcc
	v_lshrrev_b32_e32 v9, 8, v12
	v_bfe_u32 v11, v12, 20, 11
	v_and_or_b32 v7, v9, s7, v7
	v_sub_u32_e32 v13, 0x3f1, v11
	v_or_b32_e32 v9, 0x1000, v7
	v_med3_i32 v13, v13, 0, 13
	v_lshrrev_b32_e32 v14, v13, v9
	v_lshlrev_b32_e32 v13, v13, v14
	v_mul_f16_sdwa v3, v67, v3 dst_sel:DWORD dst_unused:UNUSED_PAD src0_sel:WORD_1 src1_sel:DWORD
	v_cmp_ne_u32_e32 vcc, v13, v9
	v_fma_f16 v3, v67, v18, -v3
	v_cndmask_b32_e64 v9, 0, 1, vcc
	v_add_u32_e32 v11, 0xfffffc10, v11
	v_cvt_f32_f16_e32 v3, v3
	v_or_b32_e32 v9, v14, v9
	v_lshl_or_b32 v13, v11, 12, v7
	v_cmp_gt_i32_e32 vcc, 1, v11
	v_cndmask_b32_e32 v9, v13, v9, vcc
	v_and_b32_e32 v13, 7, v9
	v_cmp_lt_i32_e32 vcc, 5, v13
	v_cmp_eq_u32_e64 s[0:1], 3, v13
	v_cvt_f64_f32_e32 v[13:14], v3
	v_lshrrev_b32_e32 v9, 2, v9
	s_or_b64 vcc, s[0:1], vcc
	v_addc_co_u32_e32 v3, vcc, 0, v9, vcc
	v_mul_f64 v[13:14], v[13:14], s[2:3]
	v_cmp_gt_i32_e32 vcc, 31, v11
	v_cndmask_b32_e32 v3, v15, v3, vcc
	v_cmp_ne_u32_e32 vcc, 0, v7
	v_cndmask_b32_e64 v7, 0, 1, vcc
	v_lshl_or_b32 v7, v7, 9, v15
	v_cmp_eq_u32_e32 vcc, s10, v11
	v_cndmask_b32_e32 v3, v3, v7, vcc
	v_lshrrev_b32_e32 v7, 16, v12
	v_and_or_b32 v3, v7, s11, v3
	v_and_or_b32 v7, v14, s6, v13
	v_cmp_ne_u32_e32 vcc, 0, v7
	v_cndmask_b32_e64 v7, 0, 1, vcc
	v_lshrrev_b32_e32 v9, 8, v14
	v_bfe_u32 v11, v14, 20, 11
	v_and_or_b32 v7, v9, s7, v7
	v_sub_u32_e32 v12, 0x3f1, v11
	v_or_b32_e32 v9, 0x1000, v7
	v_med3_i32 v12, v12, 0, 13
	v_lshrrev_b32_e32 v13, v12, v9
	v_lshlrev_b32_e32 v12, v12, v13
	v_cmp_ne_u32_e32 vcc, v12, v9
	v_cndmask_b32_e64 v9, 0, 1, vcc
	v_or_b32_e32 v9, v13, v9
	v_add_u32_e32 v13, 0xfffffc10, v11
	v_lshl_or_b32 v11, v13, 12, v7
	v_cmp_gt_i32_e32 vcc, 1, v13
	v_cndmask_b32_e32 v9, v11, v9, vcc
	v_and_b32_e32 v11, 7, v9
	v_cmp_lt_i32_e32 vcc, 5, v11
	v_cmp_eq_u32_e64 s[0:1], 3, v11
	ds_read2_b32 v[11:12], v53 offset0:90 offset1:95
	v_lshrrev_b32_e32 v9, 2, v9
	s_or_b64 vcc, s[0:1], vcc
	v_addc_co_u32_e32 v9, vcc, 0, v9, vcc
	s_waitcnt lgkmcnt(0)
	v_lshrrev_b32_e32 v20, 16, v11
	v_mul_f16_sdwa v18, v72, v20 dst_sel:DWORD dst_unused:UNUSED_PAD src0_sel:WORD_1 src1_sel:DWORD
	v_fma_f16 v18, v72, v11, v18
	v_cvt_f32_f16_e32 v18, v18
	v_cmp_gt_i32_e32 vcc, 31, v13
	v_cndmask_b32_e32 v9, v15, v9, vcc
	v_cmp_ne_u32_e32 vcc, 0, v7
	v_cvt_f64_f32_e32 v[18:19], v18
	v_cndmask_b32_e64 v7, 0, 1, vcc
	v_lshl_or_b32 v7, v7, 9, v15
	v_cmp_eq_u32_e32 vcc, s10, v13
	v_cndmask_b32_e32 v7, v9, v7, vcc
	v_lshrrev_b32_e32 v9, 16, v14
	v_mul_f64 v[13:14], v[18:19], s[2:3]
	v_and_or_b32 v7, v9, s11, v7
	v_and_b32_e32 v3, 0xffff, v3
	v_lshl_or_b32 v3, v7, 16, v3
	v_mov_b32_e32 v7, s4
	v_add_co_u32_e32 v18, vcc, s5, v4
	v_addc_co_u32_e32 v19, vcc, v5, v7, vcc
	global_store_dword v[18:19], v3, off
	v_and_or_b32 v3, v14, s6, v13
	v_cmp_ne_u32_e32 vcc, 0, v3
	v_cndmask_b32_e64 v3, 0, 1, vcc
	v_lshrrev_b32_e32 v4, 8, v14
	v_and_or_b32 v7, v4, s7, v3
	v_bfe_u32 v4, v14, 20, 11
	v_sub_u32_e32 v5, 0x3f1, v4
	v_or_b32_e32 v3, 0x1000, v7
	v_med3_i32 v5, v5, 0, 13
	v_lshrrev_b32_e32 v9, v5, v3
	v_lshlrev_b32_e32 v5, v5, v9
	v_cmp_ne_u32_e32 vcc, v5, v3
	v_mul_f16_sdwa v5, v72, v11 dst_sel:DWORD dst_unused:UNUSED_PAD src0_sel:WORD_1 src1_sel:DWORD
	v_cndmask_b32_e64 v3, 0, 1, vcc
	v_fma_f16 v5, v72, v20, -v5
	v_or_b32_e32 v3, v9, v3
	v_add_u32_e32 v9, 0xfffffc10, v4
	v_cvt_f32_f16_e32 v5, v5
	v_lshl_or_b32 v4, v9, 12, v7
	v_cmp_gt_i32_e32 vcc, 1, v9
	v_cndmask_b32_e32 v3, v4, v3, vcc
	v_and_b32_e32 v4, 7, v3
	v_cmp_lt_i32_e32 vcc, 5, v4
	v_cmp_eq_u32_e64 s[0:1], 3, v4
	v_lshrrev_b32_e32 v11, 2, v3
	v_cvt_f64_f32_e32 v[3:4], v5
	s_or_b64 vcc, s[0:1], vcc
	v_addc_co_u32_e32 v5, vcc, 0, v11, vcc
	v_cmp_gt_i32_e32 vcc, 31, v9
	v_cndmask_b32_e32 v11, v15, v5, vcc
	v_mul_f64 v[4:5], v[3:4], s[2:3]
	v_cmp_ne_u32_e32 vcc, 0, v7
	v_cndmask_b32_e64 v3, 0, 1, vcc
	v_lshl_or_b32 v3, v3, 9, v15
	v_cmp_eq_u32_e32 vcc, s10, v9
	v_cndmask_b32_e32 v3, v11, v3, vcc
	v_lshrrev_b32_e32 v7, 16, v14
	v_and_or_b32 v7, v7, s11, v3
	v_and_or_b32 v3, v5, s6, v4
	v_cmp_ne_u32_e32 vcc, 0, v3
	v_cndmask_b32_e64 v3, 0, 1, vcc
	v_lshrrev_b32_e32 v4, 8, v5
	v_and_or_b32 v9, v4, s7, v3
	v_bfe_u32 v4, v5, 20, 11
	v_sub_u32_e32 v11, 0x3f1, v4
	v_or_b32_e32 v3, 0x1000, v9
	v_med3_i32 v11, v11, 0, 13
	v_lshrrev_b32_e32 v13, v11, v3
	v_lshlrev_b32_e32 v11, v11, v13
	v_cmp_ne_u32_e32 vcc, v11, v3
	v_cndmask_b32_e64 v3, 0, 1, vcc
	v_add_u32_e32 v11, 0xfffffc10, v4
	v_or_b32_e32 v3, v13, v3
	v_lshl_or_b32 v4, v11, 12, v9
	v_cmp_gt_i32_e32 vcc, 1, v11
	v_cndmask_b32_e32 v3, v4, v3, vcc
	v_and_b32_e32 v4, 7, v3
	v_cmp_lt_i32_e32 vcc, 5, v4
	v_cmp_eq_u32_e64 s[0:1], 3, v4
	v_lshrrev_b32_e32 v3, 2, v3
	s_or_b64 vcc, s[0:1], vcc
	v_addc_co_u32_e32 v13, vcc, 0, v3, vcc
	ds_read2_b32 v[3:4], v53 offset0:100 offset1:105
	v_cmp_gt_i32_e32 vcc, 31, v11
	v_cndmask_b32_e32 v13, v15, v13, vcc
	v_cmp_ne_u32_e32 vcc, 0, v9
	v_cndmask_b32_e64 v9, 0, 1, vcc
	s_waitcnt lgkmcnt(0)
	v_lshrrev_b32_e32 v20, 16, v4
	v_mul_f16_sdwa v14, v70, v20 dst_sel:DWORD dst_unused:UNUSED_PAD src0_sel:WORD_1 src1_sel:DWORD
	v_fma_f16 v14, v70, v4, v14
	v_cvt_f32_f16_e32 v14, v14
	v_lshl_or_b32 v9, v9, 9, v15
	v_cmp_eq_u32_e32 vcc, s10, v11
	v_cndmask_b32_e32 v9, v13, v9, vcc
	v_cvt_f64_f32_e32 v[13:14], v14
	v_lshrrev_b32_e32 v5, 16, v5
	v_and_or_b32 v5, v5, s11, v9
	v_and_b32_e32 v7, 0xffff, v7
	v_mul_f64 v[13:14], v[13:14], s[2:3]
	v_lshl_or_b32 v5, v5, 16, v7
	v_mov_b32_e32 v7, s4
	v_add_co_u32_e32 v18, vcc, s5, v18
	v_addc_co_u32_e32 v19, vcc, v19, v7, vcc
	global_store_dword v[18:19], v5, off
	v_and_or_b32 v5, v14, s6, v13
	v_cmp_ne_u32_e32 vcc, 0, v5
	v_cndmask_b32_e64 v5, 0, 1, vcc
	v_lshrrev_b32_e32 v7, 8, v14
	v_bfe_u32 v9, v14, 20, 11
	v_and_or_b32 v7, v7, s7, v5
	v_sub_u32_e32 v11, 0x3f1, v9
	v_or_b32_e32 v5, 0x1000, v7
	v_med3_i32 v11, v11, 0, 13
	v_lshrrev_b32_e32 v13, v11, v5
	v_lshlrev_b32_e32 v11, v11, v13
	v_mul_f16_sdwa v4, v70, v4 dst_sel:DWORD dst_unused:UNUSED_PAD src0_sel:WORD_1 src1_sel:DWORD
	v_cmp_ne_u32_e32 vcc, v11, v5
	v_fma_f16 v4, v70, v20, -v4
	v_cndmask_b32_e64 v5, 0, 1, vcc
	v_add_u32_e32 v9, 0xfffffc10, v9
	v_cvt_f32_f16_e32 v4, v4
	v_or_b32_e32 v5, v13, v5
	v_lshl_or_b32 v11, v9, 12, v7
	v_cmp_gt_i32_e32 vcc, 1, v9
	v_cndmask_b32_e32 v5, v11, v5, vcc
	v_and_b32_e32 v11, 7, v5
	v_cmp_lt_i32_e32 vcc, 5, v11
	v_cmp_eq_u32_e64 s[0:1], 3, v11
	v_lshrrev_b32_e32 v11, 2, v5
	v_cvt_f64_f32_e32 v[4:5], v4
	s_or_b64 vcc, s[0:1], vcc
	v_addc_co_u32_e32 v11, vcc, 0, v11, vcc
	v_mul_f64 v[4:5], v[4:5], s[2:3]
	v_cmp_gt_i32_e32 vcc, 31, v9
	v_cndmask_b32_e32 v11, v15, v11, vcc
	v_cmp_ne_u32_e32 vcc, 0, v7
	v_cndmask_b32_e64 v7, 0, 1, vcc
	v_lshl_or_b32 v7, v7, 9, v15
	v_cmp_eq_u32_e32 vcc, s10, v9
	v_cndmask_b32_e32 v7, v11, v7, vcc
	v_and_or_b32 v4, v5, s6, v4
	v_lshrrev_b32_e32 v9, 16, v14
	v_cmp_ne_u32_e32 vcc, 0, v4
	v_and_or_b32 v7, v9, s11, v7
	v_cndmask_b32_e64 v4, 0, 1, vcc
	v_lshrrev_b32_e32 v9, 8, v5
	v_bfe_u32 v11, v5, 20, 11
	v_and_or_b32 v4, v9, s7, v4
	v_sub_u32_e32 v13, 0x3f1, v11
	v_or_b32_e32 v9, 0x1000, v4
	v_med3_i32 v13, v13, 0, 13
	v_lshrrev_b32_e32 v14, v13, v9
	v_lshlrev_b32_e32 v13, v13, v14
	v_cmp_ne_u32_e32 vcc, v13, v9
	v_cndmask_b32_e64 v9, 0, 1, vcc
	v_add_u32_e32 v11, 0xfffffc10, v11
	v_or_b32_e32 v9, v14, v9
	v_lshl_or_b32 v13, v11, 12, v4
	v_cmp_gt_i32_e32 vcc, 1, v11
	v_cndmask_b32_e32 v9, v13, v9, vcc
	v_and_b32_e32 v13, 7, v9
	v_cmp_lt_i32_e32 vcc, 5, v13
	v_cmp_eq_u32_e64 s[0:1], 3, v13
	ds_read2_b32 v[13:14], v53 offset0:120 offset1:125
	v_lshrrev_b32_e32 v9, 2, v9
	s_or_b64 vcc, s[0:1], vcc
	v_addc_co_u32_e32 v9, vcc, 0, v9, vcc
	s_waitcnt lgkmcnt(0)
	v_lshrrev_b32_e32 v22, 16, v13
	v_mul_f16_sdwa v20, v68, v22 dst_sel:DWORD dst_unused:UNUSED_PAD src0_sel:WORD_1 src1_sel:DWORD
	v_fma_f16 v20, v68, v13, v20
	v_cvt_f32_f16_e32 v20, v20
	v_cmp_gt_i32_e32 vcc, 31, v11
	v_cndmask_b32_e32 v9, v15, v9, vcc
	v_cmp_ne_u32_e32 vcc, 0, v4
	v_cvt_f64_f32_e32 v[20:21], v20
	v_cndmask_b32_e64 v4, 0, 1, vcc
	v_lshl_or_b32 v4, v4, 9, v15
	v_cmp_eq_u32_e32 vcc, s10, v11
	v_cndmask_b32_e32 v4, v9, v4, vcc
	v_lshrrev_b32_e32 v5, 16, v5
	v_and_or_b32 v9, v5, s11, v4
	v_mul_f64 v[4:5], v[20:21], s[2:3]
	v_and_b32_e32 v7, 0xffff, v7
	v_lshl_or_b32 v7, v9, 16, v7
	v_mov_b32_e32 v9, s4
	v_add_co_u32_e32 v18, vcc, s5, v18
	v_addc_co_u32_e32 v19, vcc, v19, v9, vcc
	v_and_or_b32 v4, v5, s6, v4
	v_cmp_ne_u32_e32 vcc, 0, v4
	global_store_dword v[18:19], v7, off
	v_cndmask_b32_e64 v4, 0, 1, vcc
	v_lshrrev_b32_e32 v7, 8, v5
	v_bfe_u32 v9, v5, 20, 11
	v_and_or_b32 v4, v7, s7, v4
	v_sub_u32_e32 v11, 0x3f1, v9
	v_mul_f16_sdwa v13, v68, v13 dst_sel:DWORD dst_unused:UNUSED_PAD src0_sel:WORD_1 src1_sel:DWORD
	v_or_b32_e32 v7, 0x1000, v4
	v_med3_i32 v11, v11, 0, 13
	v_fma_f16 v13, v68, v22, -v13
	v_lshrrev_b32_e32 v20, v11, v7
	v_cvt_f32_f16_e32 v13, v13
	v_lshlrev_b32_e32 v11, v11, v20
	v_cmp_ne_u32_e32 vcc, v11, v7
	v_cndmask_b32_e64 v7, 0, 1, vcc
	v_or_b32_e32 v7, v20, v7
	v_add_u32_e32 v9, 0xfffffc10, v9
	v_cvt_f64_f32_e32 v[20:21], v13
	v_lshl_or_b32 v11, v9, 12, v4
	v_cmp_gt_i32_e32 vcc, 1, v9
	v_cndmask_b32_e32 v7, v11, v7, vcc
	v_and_b32_e32 v11, 7, v7
	v_cmp_lt_i32_e32 vcc, 5, v11
	v_cmp_eq_u32_e64 s[0:1], 3, v11
	v_mul_f64 v[20:21], v[20:21], s[2:3]
	v_lshrrev_b32_e32 v7, 2, v7
	s_or_b64 vcc, s[0:1], vcc
	v_addc_co_u32_e32 v7, vcc, 0, v7, vcc
	v_cmp_gt_i32_e32 vcc, 31, v9
	v_cndmask_b32_e32 v7, v15, v7, vcc
	v_cmp_ne_u32_e32 vcc, 0, v4
	v_cndmask_b32_e64 v4, 0, 1, vcc
	v_lshl_or_b32 v4, v4, 9, v15
	v_cmp_eq_u32_e32 vcc, s10, v9
	v_cndmask_b32_e32 v4, v7, v4, vcc
	v_lshrrev_b32_e32 v5, 16, v5
	v_and_or_b32 v9, v5, s11, v4
	v_and_or_b32 v4, v21, s6, v20
	v_cmp_ne_u32_e32 vcc, 0, v4
	v_cndmask_b32_e64 v4, 0, 1, vcc
	v_lshrrev_b32_e32 v5, 8, v21
	v_bfe_u32 v7, v21, 20, 11
	v_and_or_b32 v4, v5, s7, v4
	v_sub_u32_e32 v11, 0x3f1, v7
	v_or_b32_e32 v5, 0x1000, v4
	v_med3_i32 v11, v11, 0, 13
	v_lshrrev_b32_e32 v13, v11, v5
	v_lshlrev_b32_e32 v11, v11, v13
	v_cmp_ne_u32_e32 vcc, v11, v5
	v_cndmask_b32_e64 v5, 0, 1, vcc
	v_add_u32_e32 v7, 0xfffffc10, v7
	v_or_b32_e32 v5, v13, v5
	v_lshl_or_b32 v11, v7, 12, v4
	v_cmp_gt_i32_e32 vcc, 1, v7
	v_cndmask_b32_e32 v5, v11, v5, vcc
	v_and_b32_e32 v11, 7, v5
	v_cmp_lt_i32_e32 vcc, 5, v11
	v_cmp_eq_u32_e64 s[0:1], 3, v11
	v_lshrrev_b32_e32 v5, 2, v5
	s_or_b64 vcc, s[0:1], vcc
	v_addc_co_u32_e32 v5, vcc, 0, v5, vcc
	v_cmp_gt_i32_e32 vcc, 31, v7
	v_cndmask_b32_e32 v11, v15, v5, vcc
	v_cmp_ne_u32_e32 vcc, 0, v4
	ds_read2_b32 v[4:5], v53 offset0:130 offset1:135
	v_cndmask_b32_e64 v13, 0, 1, vcc
	v_lshl_or_b32 v13, v13, 9, v15
	v_cmp_eq_u32_e32 vcc, s10, v7
	v_cndmask_b32_e32 v11, v11, v13, vcc
	s_waitcnt lgkmcnt(0)
	v_lshrrev_b32_e32 v13, 16, v5
	v_mul_f16_sdwa v20, v65, v13 dst_sel:DWORD dst_unused:UNUSED_PAD src0_sel:WORD_1 src1_sel:DWORD
	v_mad_u64_u32 v[22:23], s[0:1], s8, v66, 0
	v_fma_f16 v20, v65, v5, v20
	v_cvt_f32_f16_e32 v20, v20
	v_mov_b32_e32 v7, v23
	v_mad_u64_u32 v[23:24], s[0:1], s9, v66, v[7:8]
	v_lshrrev_b32_e32 v7, 16, v21
	v_cvt_f64_f32_e32 v[20:21], v20
	v_lshlrev_b64 v[22:23], 2, v[22:23]
	v_and_or_b32 v7, v7, s11, v11
	v_and_b32_e32 v9, 0xffff, v9
	v_mul_f64 v[20:21], v[20:21], s[2:3]
	v_add_co_u32_e32 v22, vcc, v16, v22
	v_lshl_or_b32 v7, v7, 16, v9
	v_addc_co_u32_e32 v23, vcc, v17, v23, vcc
	global_store_dword v[22:23], v7, off
	v_mul_f16_sdwa v5, v65, v5 dst_sel:DWORD dst_unused:UNUSED_PAD src0_sel:WORD_1 src1_sel:DWORD
	v_and_or_b32 v7, v21, s6, v20
	v_cmp_ne_u32_e32 vcc, 0, v7
	v_cndmask_b32_e64 v7, 0, 1, vcc
	v_lshrrev_b32_e32 v9, 8, v21
	v_bfe_u32 v11, v21, 20, 11
	v_and_or_b32 v7, v9, s7, v7
	v_sub_u32_e32 v20, 0x3f1, v11
	v_or_b32_e32 v9, 0x1000, v7
	v_med3_i32 v20, v20, 0, 13
	v_fma_f16 v5, v65, v13, -v5
	v_lshrrev_b32_e32 v22, v20, v9
	v_cvt_f32_f16_e32 v5, v5
	v_lshlrev_b32_e32 v20, v20, v22
	v_cmp_ne_u32_e32 vcc, v20, v9
	v_cndmask_b32_e64 v9, 0, 1, vcc
	v_or_b32_e32 v9, v22, v9
	v_add_u32_e32 v11, 0xfffffc10, v11
	v_cvt_f64_f32_e32 v[22:23], v5
	v_lshl_or_b32 v20, v11, 12, v7
	v_cmp_gt_i32_e32 vcc, 1, v11
	v_cndmask_b32_e32 v9, v20, v9, vcc
	v_and_b32_e32 v20, 7, v9
	v_cmp_lt_i32_e32 vcc, 5, v20
	v_cmp_eq_u32_e64 s[0:1], 3, v20
	v_mul_f64 v[22:23], v[22:23], s[2:3]
	v_lshrrev_b32_e32 v9, 2, v9
	s_or_b64 vcc, s[0:1], vcc
	v_addc_co_u32_e32 v5, vcc, 0, v9, vcc
	v_cmp_gt_i32_e32 vcc, 31, v11
	v_cndmask_b32_e32 v5, v15, v5, vcc
	v_cmp_ne_u32_e32 vcc, 0, v7
	v_cndmask_b32_e64 v7, 0, 1, vcc
	v_lshl_or_b32 v7, v7, 9, v15
	v_cmp_eq_u32_e32 vcc, s10, v11
	v_cndmask_b32_e32 v5, v5, v7, vcc
	v_lshrrev_b32_e32 v7, 16, v21
	v_and_or_b32 v5, v7, s11, v5
	v_and_or_b32 v7, v23, s6, v22
	v_cmp_ne_u32_e32 vcc, 0, v7
	v_cndmask_b32_e64 v7, 0, 1, vcc
	v_lshrrev_b32_e32 v9, 8, v23
	v_bfe_u32 v11, v23, 20, 11
	v_and_or_b32 v7, v9, s7, v7
	v_sub_u32_e32 v13, 0x3f1, v11
	v_or_b32_e32 v9, 0x1000, v7
	v_med3_i32 v13, v13, 0, 13
	v_lshrrev_b32_e32 v20, v13, v9
	v_lshlrev_b32_e32 v13, v13, v20
	v_cmp_ne_u32_e32 vcc, v13, v9
	v_cndmask_b32_e64 v9, 0, 1, vcc
	v_add_u32_e32 v11, 0xfffffc10, v11
	v_or_b32_e32 v9, v20, v9
	v_lshl_or_b32 v13, v11, 12, v7
	v_cmp_gt_i32_e32 vcc, 1, v11
	v_cndmask_b32_e32 v9, v13, v9, vcc
	v_and_b32_e32 v13, 7, v9
	v_cmp_lt_i32_e32 vcc, 5, v13
	v_cmp_eq_u32_e64 s[0:1], 3, v13
	v_lshrrev_b32_e32 v9, 2, v9
	s_or_b64 vcc, s[0:1], vcc
	v_addc_co_u32_e32 v9, vcc, 0, v9, vcc
	v_cmp_gt_i32_e32 vcc, 31, v11
	v_cndmask_b32_e32 v9, v15, v9, vcc
	v_cmp_ne_u32_e32 vcc, 0, v7
	v_cndmask_b32_e64 v7, 0, 1, vcc
	v_cmp_eq_u32_e32 vcc, s10, v11
	v_lshrrev_b32_e32 v11, 16, v6
	v_mul_f16_sdwa v13, v64, v11 dst_sel:DWORD dst_unused:UNUSED_PAD src0_sel:WORD_1 src1_sel:DWORD
	v_fma_f16 v13, v64, v6, v13
	v_cvt_f32_f16_e32 v13, v13
	v_lshl_or_b32 v7, v7, 9, v15
	v_cndmask_b32_e32 v7, v9, v7, vcc
	v_lshrrev_b32_e32 v9, 16, v23
	v_cvt_f64_f32_e32 v[20:21], v13
	s_mul_i32 s0, s9, 0x78
	v_and_or_b32 v7, v9, s11, v7
	v_and_b32_e32 v5, 0xffff, v5
	v_mul_f64 v[20:21], v[20:21], s[2:3]
	s_add_i32 s12, s12, s0
	v_lshl_or_b32 v5, v7, 16, v5
	v_mov_b32_e32 v7, s12
	v_add_co_u32_e32 v18, vcc, s13, v18
	v_addc_co_u32_e32 v19, vcc, v19, v7, vcc
	global_store_dword v[18:19], v5, off
	v_and_or_b32 v5, v21, s6, v20
	v_cmp_ne_u32_e32 vcc, 0, v5
	v_cndmask_b32_e64 v5, 0, 1, vcc
	v_lshrrev_b32_e32 v7, 8, v21
	v_and_or_b32 v9, v7, s7, v5
	v_bfe_u32 v7, v21, 20, 11
	v_sub_u32_e32 v13, 0x3f1, v7
	v_or_b32_e32 v5, 0x1000, v9
	v_med3_i32 v13, v13, 0, 13
	v_lshrrev_b32_e32 v20, v13, v5
	v_lshlrev_b32_e32 v13, v13, v20
	v_mul_f16_sdwa v6, v64, v6 dst_sel:DWORD dst_unused:UNUSED_PAD src0_sel:WORD_1 src1_sel:DWORD
	v_cmp_ne_u32_e32 vcc, v13, v5
	v_fma_f16 v6, v64, v11, -v6
	v_cndmask_b32_e64 v5, 0, 1, vcc
	v_add_u32_e32 v13, 0xfffffc10, v7
	v_cvt_f32_f16_e32 v6, v6
	v_or_b32_e32 v5, v20, v5
	v_lshl_or_b32 v7, v13, 12, v9
	v_cmp_gt_i32_e32 vcc, 1, v13
	v_cndmask_b32_e32 v5, v7, v5, vcc
	v_and_b32_e32 v7, 7, v5
	v_cmp_lt_i32_e32 vcc, 5, v7
	v_cmp_eq_u32_e64 s[0:1], 3, v7
	v_lshrrev_b32_e32 v7, 2, v5
	v_cvt_f64_f32_e32 v[5:6], v6
	s_or_b64 vcc, s[0:1], vcc
	v_addc_co_u32_e32 v7, vcc, 0, v7, vcc
	v_cmp_gt_i32_e32 vcc, 31, v13
	v_cndmask_b32_e32 v11, v15, v7, vcc
	v_mul_f64 v[6:7], v[5:6], s[2:3]
	v_cmp_ne_u32_e32 vcc, 0, v9
	v_cndmask_b32_e64 v5, 0, 1, vcc
	v_lshl_or_b32 v5, v5, 9, v15
	v_cmp_eq_u32_e32 vcc, s10, v13
	v_cndmask_b32_e32 v5, v11, v5, vcc
	v_lshrrev_b32_e32 v9, 16, v21
	v_and_or_b32 v9, v9, s11, v5
	v_and_or_b32 v5, v7, s6, v6
	v_cmp_ne_u32_e32 vcc, 0, v5
	v_cndmask_b32_e64 v5, 0, 1, vcc
	v_lshrrev_b32_e32 v6, 8, v7
	v_and_or_b32 v11, v6, s7, v5
	v_bfe_u32 v6, v7, 20, 11
	v_sub_u32_e32 v13, 0x3f1, v6
	v_or_b32_e32 v5, 0x1000, v11
	v_med3_i32 v13, v13, 0, 13
	v_lshrrev_b32_e32 v20, v13, v5
	v_lshlrev_b32_e32 v13, v13, v20
	v_cmp_ne_u32_e32 vcc, v13, v5
	v_cndmask_b32_e64 v5, 0, 1, vcc
	v_add_u32_e32 v13, 0xfffffc10, v6
	v_or_b32_e32 v5, v20, v5
	v_lshl_or_b32 v6, v13, 12, v11
	v_cmp_gt_i32_e32 vcc, 1, v13
	v_cndmask_b32_e32 v5, v6, v5, vcc
	v_and_b32_e32 v6, 7, v5
	v_cmp_lt_i32_e32 vcc, 5, v6
	v_cmp_eq_u32_e64 s[0:1], 3, v6
	v_lshrrev_b32_e32 v5, 2, v5
	s_or_b64 vcc, s[0:1], vcc
	v_addc_co_u32_e32 v20, vcc, 0, v5, vcc
	ds_read2_b32 v[5:6], v53 offset0:20 offset1:25
	v_cmp_gt_i32_e32 vcc, 31, v13
	v_cndmask_b32_e32 v20, v15, v20, vcc
	v_cmp_ne_u32_e32 vcc, 0, v11
	v_cndmask_b32_e64 v11, 0, 1, vcc
	s_waitcnt lgkmcnt(0)
	v_lshrrev_b32_e32 v22, 16, v5
	v_mul_f16_sdwa v21, v63, v22 dst_sel:DWORD dst_unused:UNUSED_PAD src0_sel:WORD_1 src1_sel:DWORD
	v_fma_f16 v21, v63, v5, v21
	v_cvt_f32_f16_e32 v21, v21
	v_lshl_or_b32 v11, v11, 9, v15
	v_cmp_eq_u32_e32 vcc, s10, v13
	v_cndmask_b32_e32 v11, v20, v11, vcc
	v_cvt_f64_f32_e32 v[20:21], v21
	v_mad_u64_u32 v[18:19], s[0:1], s8, v52, v[18:19]
	v_lshrrev_b32_e32 v7, 16, v7
	v_mul_f64 v[20:21], v[20:21], s[2:3]
	s_mul_i32 s0, s9, 0xfffffdf8
	v_and_or_b32 v7, v7, s11, v11
	v_and_b32_e32 v9, 0xffff, v9
	s_sub_i32 s14, s0, s8
	v_lshl_or_b32 v7, v7, 16, v9
	v_add_u32_e32 v19, s14, v19
	global_store_dword v[18:19], v7, off
	v_and_or_b32 v7, v21, s6, v20
	v_cmp_ne_u32_e32 vcc, 0, v7
	v_cndmask_b32_e64 v7, 0, 1, vcc
	v_lshrrev_b32_e32 v9, 8, v21
	v_bfe_u32 v11, v21, 20, 11
	v_mul_f16_sdwa v5, v63, v5 dst_sel:DWORD dst_unused:UNUSED_PAD src0_sel:WORD_1 src1_sel:DWORD
	v_and_or_b32 v7, v9, s7, v7
	v_sub_u32_e32 v13, 0x3f1, v11
	v_fma_f16 v5, v63, v22, -v5
	v_or_b32_e32 v9, 0x1000, v7
	v_med3_i32 v13, v13, 0, 13
	v_cvt_f32_f16_e32 v5, v5
	v_lshrrev_b32_e32 v20, v13, v9
	v_lshlrev_b32_e32 v13, v13, v20
	v_cmp_ne_u32_e32 vcc, v13, v9
	v_cndmask_b32_e64 v9, 0, 1, vcc
	v_add_u32_e32 v11, 0xfffffc10, v11
	v_cvt_f64_f32_e32 v[22:23], v5
	v_or_b32_e32 v9, v20, v9
	v_lshl_or_b32 v13, v11, 12, v7
	v_cmp_gt_i32_e32 vcc, 1, v11
	v_cndmask_b32_e32 v9, v13, v9, vcc
	v_and_b32_e32 v13, 7, v9
	v_cmp_lt_i32_e32 vcc, 5, v13
	v_cmp_eq_u32_e64 s[0:1], 3, v13
	v_mul_f64 v[22:23], v[22:23], s[2:3]
	v_lshrrev_b32_e32 v9, 2, v9
	s_or_b64 vcc, s[0:1], vcc
	v_addc_co_u32_e32 v5, vcc, 0, v9, vcc
	v_cmp_gt_i32_e32 vcc, 31, v11
	v_cndmask_b32_e32 v5, v15, v5, vcc
	v_cmp_ne_u32_e32 vcc, 0, v7
	v_cndmask_b32_e64 v7, 0, 1, vcc
	v_lshl_or_b32 v7, v7, 9, v15
	v_cmp_eq_u32_e32 vcc, s10, v11
	v_cndmask_b32_e32 v5, v5, v7, vcc
	v_lshrrev_b32_e32 v7, 16, v21
	v_and_or_b32 v5, v7, s11, v5
	v_and_or_b32 v7, v23, s6, v22
	v_cmp_ne_u32_e32 vcc, 0, v7
	v_cndmask_b32_e64 v7, 0, 1, vcc
	v_lshrrev_b32_e32 v9, 8, v23
	v_bfe_u32 v11, v23, 20, 11
	v_and_or_b32 v7, v9, s7, v7
	v_sub_u32_e32 v13, 0x3f1, v11
	v_or_b32_e32 v9, 0x1000, v7
	v_med3_i32 v13, v13, 0, 13
	v_lshrrev_b32_e32 v20, v13, v9
	v_lshlrev_b32_e32 v13, v13, v20
	v_cmp_ne_u32_e32 vcc, v13, v9
	v_cndmask_b32_e64 v9, 0, 1, vcc
	v_add_u32_e32 v11, 0xfffffc10, v11
	v_or_b32_e32 v9, v20, v9
	v_lshl_or_b32 v13, v11, 12, v7
	v_cmp_gt_i32_e32 vcc, 1, v11
	v_cndmask_b32_e32 v9, v13, v9, vcc
	v_and_b32_e32 v13, 7, v9
	v_cmp_lt_i32_e32 vcc, 5, v13
	v_cmp_eq_u32_e64 s[0:1], 3, v13
	v_lshrrev_b32_e32 v13, 16, v8
	v_mul_f16_sdwa v20, v62, v13 dst_sel:DWORD dst_unused:UNUSED_PAD src0_sel:WORD_1 src1_sel:DWORD
	v_fma_f16 v20, v62, v8, v20
	v_cvt_f32_f16_e32 v20, v20
	v_lshrrev_b32_e32 v9, 2, v9
	s_or_b64 vcc, s[0:1], vcc
	v_addc_co_u32_e32 v9, vcc, 0, v9, vcc
	v_cvt_f64_f32_e32 v[20:21], v20
	v_cmp_gt_i32_e32 vcc, 31, v11
	v_cndmask_b32_e32 v9, v15, v9, vcc
	v_cmp_ne_u32_e32 vcc, 0, v7
	v_mul_f64 v[20:21], v[20:21], s[2:3]
	v_cndmask_b32_e64 v7, 0, 1, vcc
	v_lshl_or_b32 v7, v7, 9, v15
	v_cmp_eq_u32_e32 vcc, s10, v11
	v_cndmask_b32_e32 v7, v9, v7, vcc
	v_lshrrev_b32_e32 v9, 16, v23
	v_and_or_b32 v7, v9, s11, v7
	v_and_b32_e32 v5, 0xffff, v5
	v_lshl_or_b32 v5, v7, 16, v5
	v_mov_b32_e32 v7, s4
	v_add_co_u32_e32 v18, vcc, s5, v18
	v_addc_co_u32_e32 v19, vcc, v19, v7, vcc
	global_store_dword v[18:19], v5, off
	v_and_or_b32 v5, v21, s6, v20
	v_cmp_ne_u32_e32 vcc, 0, v5
	v_cndmask_b32_e64 v5, 0, 1, vcc
	v_lshrrev_b32_e32 v7, 8, v21
	v_bfe_u32 v9, v21, 20, 11
	v_and_or_b32 v5, v7, s7, v5
	v_sub_u32_e32 v11, 0x3f1, v9
	v_or_b32_e32 v7, 0x1000, v5
	v_med3_i32 v11, v11, 0, 13
	v_lshrrev_b32_e32 v20, v11, v7
	v_lshlrev_b32_e32 v11, v11, v20
	v_mul_f16_sdwa v8, v62, v8 dst_sel:DWORD dst_unused:UNUSED_PAD src0_sel:WORD_1 src1_sel:DWORD
	v_cmp_ne_u32_e32 vcc, v11, v7
	v_fma_f16 v8, v62, v13, -v8
	v_cndmask_b32_e64 v7, 0, 1, vcc
	v_add_u32_e32 v11, 0xfffffc10, v9
	v_cvt_f32_f16_e32 v8, v8
	v_or_b32_e32 v7, v20, v7
	v_lshl_or_b32 v9, v11, 12, v5
	v_cmp_gt_i32_e32 vcc, 1, v11
	v_cndmask_b32_e32 v7, v9, v7, vcc
	v_and_b32_e32 v9, 7, v7
	v_cmp_lt_i32_e32 vcc, 5, v9
	v_cmp_eq_u32_e64 s[0:1], 3, v9
	v_lshrrev_b32_e32 v9, 2, v7
	v_cvt_f64_f32_e32 v[7:8], v8
	s_or_b64 vcc, s[0:1], vcc
	v_addc_co_u32_e32 v9, vcc, 0, v9, vcc
	v_cmp_gt_i32_e32 vcc, 31, v11
	v_cndmask_b32_e32 v13, v15, v9, vcc
	v_mul_f64 v[8:9], v[7:8], s[2:3]
	v_cmp_ne_u32_e32 vcc, 0, v5
	v_cndmask_b32_e64 v5, 0, 1, vcc
	v_lshl_or_b32 v5, v5, 9, v15
	v_cmp_eq_u32_e32 vcc, s10, v11
	v_cndmask_b32_e32 v5, v13, v5, vcc
	v_lshrrev_b32_e32 v7, 16, v21
	v_and_or_b32 v5, v7, s11, v5
	v_and_or_b32 v7, v9, s6, v8
	v_cmp_ne_u32_e32 vcc, 0, v7
	v_cndmask_b32_e64 v7, 0, 1, vcc
	v_lshrrev_b32_e32 v8, 8, v9
	v_and_or_b32 v11, v8, s7, v7
	v_bfe_u32 v8, v9, 20, 11
	v_sub_u32_e32 v13, 0x3f1, v8
	v_or_b32_e32 v7, 0x1000, v11
	v_med3_i32 v13, v13, 0, 13
	v_lshrrev_b32_e32 v20, v13, v7
	v_lshlrev_b32_e32 v13, v13, v20
	v_cmp_ne_u32_e32 vcc, v13, v7
	v_cndmask_b32_e64 v7, 0, 1, vcc
	v_add_u32_e32 v13, 0xfffffc10, v8
	v_or_b32_e32 v7, v20, v7
	v_lshl_or_b32 v8, v13, 12, v11
	v_cmp_gt_i32_e32 vcc, 1, v13
	v_cndmask_b32_e32 v7, v8, v7, vcc
	v_and_b32_e32 v8, 7, v7
	v_cmp_lt_i32_e32 vcc, 5, v8
	v_cmp_eq_u32_e64 s[0:1], 3, v8
	v_lshrrev_b32_e32 v7, 2, v7
	s_or_b64 vcc, s[0:1], vcc
	v_addc_co_u32_e32 v20, vcc, 0, v7, vcc
	ds_read2_b32 v[7:8], v53 offset0:50 offset1:55
	v_cmp_gt_i32_e32 vcc, 31, v13
	v_cndmask_b32_e32 v20, v15, v20, vcc
	v_cmp_ne_u32_e32 vcc, 0, v11
	v_cndmask_b32_e64 v11, 0, 1, vcc
	s_waitcnt lgkmcnt(0)
	v_lshrrev_b32_e32 v22, 16, v7
	v_mul_f16_sdwa v21, v60, v22 dst_sel:DWORD dst_unused:UNUSED_PAD src0_sel:WORD_1 src1_sel:DWORD
	v_fma_f16 v21, v60, v7, v21
	v_cvt_f32_f16_e32 v21, v21
	v_lshl_or_b32 v11, v11, 9, v15
	v_cmp_eq_u32_e32 vcc, s10, v13
	v_cndmask_b32_e32 v11, v20, v11, vcc
	v_cvt_f64_f32_e32 v[20:21], v21
	v_lshrrev_b32_e32 v9, 16, v9
	v_and_or_b32 v9, v9, s11, v11
	v_and_b32_e32 v5, 0xffff, v5
	v_mul_f64 v[20:21], v[20:21], s[2:3]
	v_lshl_or_b32 v5, v9, 16, v5
	v_mov_b32_e32 v9, s4
	v_add_co_u32_e32 v18, vcc, s5, v18
	v_addc_co_u32_e32 v19, vcc, v19, v9, vcc
	global_store_dword v[18:19], v5, off
	v_and_or_b32 v5, v21, s6, v20
	v_cmp_ne_u32_e32 vcc, 0, v5
	v_cndmask_b32_e64 v5, 0, 1, vcc
	v_lshrrev_b32_e32 v9, 8, v21
	v_bfe_u32 v11, v21, 20, 11
	v_mul_f16_sdwa v7, v60, v7 dst_sel:DWORD dst_unused:UNUSED_PAD src0_sel:WORD_1 src1_sel:DWORD
	v_and_or_b32 v5, v9, s7, v5
	v_sub_u32_e32 v13, 0x3f1, v11
	v_fma_f16 v7, v60, v22, -v7
	v_or_b32_e32 v9, 0x1000, v5
	v_med3_i32 v13, v13, 0, 13
	v_cvt_f32_f16_e32 v7, v7
	v_lshrrev_b32_e32 v20, v13, v9
	v_lshlrev_b32_e32 v13, v13, v20
	v_cmp_ne_u32_e32 vcc, v13, v9
	v_cndmask_b32_e64 v9, 0, 1, vcc
	v_add_u32_e32 v11, 0xfffffc10, v11
	v_cvt_f64_f32_e32 v[22:23], v7
	v_or_b32_e32 v9, v20, v9
	v_lshl_or_b32 v13, v11, 12, v5
	v_cmp_gt_i32_e32 vcc, 1, v11
	v_cndmask_b32_e32 v9, v13, v9, vcc
	v_and_b32_e32 v13, 7, v9
	v_cmp_lt_i32_e32 vcc, 5, v13
	v_cmp_eq_u32_e64 s[0:1], 3, v13
	v_mul_f64 v[22:23], v[22:23], s[2:3]
	v_lshrrev_b32_e32 v9, 2, v9
	s_or_b64 vcc, s[0:1], vcc
	v_addc_co_u32_e32 v7, vcc, 0, v9, vcc
	v_cmp_gt_i32_e32 vcc, 31, v11
	v_cndmask_b32_e32 v7, v15, v7, vcc
	v_cmp_ne_u32_e32 vcc, 0, v5
	v_cndmask_b32_e64 v5, 0, 1, vcc
	v_lshl_or_b32 v5, v5, 9, v15
	v_cmp_eq_u32_e32 vcc, s10, v11
	v_cndmask_b32_e32 v5, v7, v5, vcc
	v_lshrrev_b32_e32 v7, 16, v21
	v_and_or_b32 v5, v7, s11, v5
	v_and_or_b32 v7, v23, s6, v22
	v_cmp_ne_u32_e32 vcc, 0, v7
	v_cndmask_b32_e64 v7, 0, 1, vcc
	v_lshrrev_b32_e32 v9, 8, v23
	v_bfe_u32 v11, v23, 20, 11
	v_and_or_b32 v7, v9, s7, v7
	v_sub_u32_e32 v13, 0x3f1, v11
	v_or_b32_e32 v9, 0x1000, v7
	v_med3_i32 v13, v13, 0, 13
	v_lshrrev_b32_e32 v20, v13, v9
	v_lshlrev_b32_e32 v13, v13, v20
	v_cmp_ne_u32_e32 vcc, v13, v9
	v_cndmask_b32_e64 v9, 0, 1, vcc
	v_add_u32_e32 v11, 0xfffffc10, v11
	v_or_b32_e32 v9, v20, v9
	v_lshl_or_b32 v13, v11, 12, v7
	v_cmp_gt_i32_e32 vcc, 1, v11
	v_cndmask_b32_e32 v9, v13, v9, vcc
	v_and_b32_e32 v13, 7, v9
	v_cmp_lt_i32_e32 vcc, 5, v13
	v_cmp_eq_u32_e64 s[0:1], 3, v13
	v_lshrrev_b32_e32 v13, 16, v10
	v_mul_f16_sdwa v20, v57, v13 dst_sel:DWORD dst_unused:UNUSED_PAD src0_sel:WORD_1 src1_sel:DWORD
	v_fma_f16 v20, v57, v10, v20
	v_cvt_f32_f16_e32 v20, v20
	v_lshrrev_b32_e32 v9, 2, v9
	s_or_b64 vcc, s[0:1], vcc
	v_addc_co_u32_e32 v9, vcc, 0, v9, vcc
	v_cvt_f64_f32_e32 v[20:21], v20
	v_cmp_gt_i32_e32 vcc, 31, v11
	v_cndmask_b32_e32 v9, v15, v9, vcc
	v_cmp_ne_u32_e32 vcc, 0, v7
	v_mul_f64 v[20:21], v[20:21], s[2:3]
	v_cndmask_b32_e64 v7, 0, 1, vcc
	v_lshl_or_b32 v7, v7, 9, v15
	v_cmp_eq_u32_e32 vcc, s10, v11
	v_cndmask_b32_e32 v7, v9, v7, vcc
	v_lshrrev_b32_e32 v9, 16, v23
	v_and_or_b32 v7, v9, s11, v7
	v_and_b32_e32 v5, 0xffff, v5
	v_lshl_or_b32 v5, v7, 16, v5
	v_mov_b32_e32 v7, s4
	v_add_co_u32_e32 v18, vcc, s5, v18
	v_addc_co_u32_e32 v19, vcc, v19, v7, vcc
	global_store_dword v[18:19], v5, off
	v_and_or_b32 v5, v21, s6, v20
	v_cmp_ne_u32_e32 vcc, 0, v5
	v_cndmask_b32_e64 v5, 0, 1, vcc
	v_lshrrev_b32_e32 v7, 8, v21
	v_bfe_u32 v9, v21, 20, 11
	v_and_or_b32 v5, v7, s7, v5
	v_sub_u32_e32 v11, 0x3f1, v9
	v_or_b32_e32 v7, 0x1000, v5
	v_med3_i32 v11, v11, 0, 13
	v_lshrrev_b32_e32 v20, v11, v7
	v_lshlrev_b32_e32 v11, v11, v20
	v_cmp_ne_u32_e32 vcc, v11, v7
	v_mul_f16_sdwa v10, v57, v10 dst_sel:DWORD dst_unused:UNUSED_PAD src0_sel:WORD_1 src1_sel:DWORD
	v_cndmask_b32_e64 v7, 0, 1, vcc
	v_fma_f16 v10, v57, v13, -v10
	v_or_b32_e32 v7, v20, v7
	v_add_u32_e32 v20, 0xfffffc10, v9
	v_cvt_f32_f16_e32 v10, v10
	v_lshl_or_b32 v9, v20, 12, v5
	v_cmp_gt_i32_e32 vcc, 1, v20
	v_cndmask_b32_e32 v7, v9, v7, vcc
	v_and_b32_e32 v9, 7, v7
	v_cmp_lt_i32_e32 vcc, 5, v9
	v_cmp_eq_u32_e64 s[0:1], 3, v9
	v_cvt_f64_f32_e32 v[9:10], v10
	v_lshrrev_b32_e32 v7, 2, v7
	s_or_b64 vcc, s[0:1], vcc
	v_addc_co_u32_e32 v7, vcc, 0, v7, vcc
	v_mul_f64 v[10:11], v[9:10], s[2:3]
	v_cmp_gt_i32_e32 vcc, 31, v20
	v_cndmask_b32_e32 v7, v15, v7, vcc
	v_cmp_ne_u32_e32 vcc, 0, v5
	v_cndmask_b32_e64 v5, 0, 1, vcc
	v_lshl_or_b32 v5, v5, 9, v15
	v_cmp_eq_u32_e32 vcc, s10, v20
	v_cndmask_b32_e32 v5, v7, v5, vcc
	v_lshrrev_b32_e32 v7, 16, v21
	v_and_or_b32 v5, v7, s11, v5
	v_and_or_b32 v7, v11, s6, v10
	v_cmp_ne_u32_e32 vcc, 0, v7
	v_cndmask_b32_e64 v7, 0, 1, vcc
	v_lshrrev_b32_e32 v9, 8, v11
	v_bfe_u32 v10, v11, 20, 11
	v_and_or_b32 v7, v9, s7, v7
	v_sub_u32_e32 v13, 0x3f1, v10
	v_or_b32_e32 v9, 0x1000, v7
	v_med3_i32 v13, v13, 0, 13
	v_lshrrev_b32_e32 v20, v13, v9
	v_lshlrev_b32_e32 v13, v13, v20
	v_cmp_ne_u32_e32 vcc, v13, v9
	v_cndmask_b32_e64 v9, 0, 1, vcc
	v_add_u32_e32 v13, 0xfffffc10, v10
	v_or_b32_e32 v9, v20, v9
	v_lshl_or_b32 v10, v13, 12, v7
	v_cmp_gt_i32_e32 vcc, 1, v13
	v_cndmask_b32_e32 v9, v10, v9, vcc
	v_and_b32_e32 v10, 7, v9
	v_cmp_lt_i32_e32 vcc, 5, v10
	v_cmp_eq_u32_e64 s[0:1], 3, v10
	v_lshrrev_b32_e32 v9, 2, v9
	s_or_b64 vcc, s[0:1], vcc
	v_addc_co_u32_e32 v20, vcc, 0, v9, vcc
	ds_read2_b32 v[9:10], v53 offset0:80 offset1:85
	v_cmp_gt_i32_e32 vcc, 31, v13
	v_cndmask_b32_e32 v20, v15, v20, vcc
	v_cmp_ne_u32_e32 vcc, 0, v7
	v_cndmask_b32_e64 v7, 0, 1, vcc
	s_waitcnt lgkmcnt(0)
	v_lshrrev_b32_e32 v22, 16, v9
	v_mul_f16_sdwa v21, v61, v22 dst_sel:DWORD dst_unused:UNUSED_PAD src0_sel:WORD_1 src1_sel:DWORD
	v_fma_f16 v21, v61, v9, v21
	v_cvt_f32_f16_e32 v21, v21
	v_lshl_or_b32 v7, v7, 9, v15
	v_cmp_eq_u32_e32 vcc, s10, v13
	v_cndmask_b32_e32 v7, v20, v7, vcc
	v_cvt_f64_f32_e32 v[20:21], v21
	v_lshrrev_b32_e32 v11, 16, v11
	v_and_or_b32 v7, v11, s11, v7
	v_and_b32_e32 v5, 0xffff, v5
	v_mul_f64 v[20:21], v[20:21], s[2:3]
	v_lshl_or_b32 v5, v7, 16, v5
	v_mov_b32_e32 v7, s4
	v_add_co_u32_e32 v18, vcc, s5, v18
	v_addc_co_u32_e32 v19, vcc, v19, v7, vcc
	global_store_dword v[18:19], v5, off
	v_and_or_b32 v5, v21, s6, v20
	v_cmp_ne_u32_e32 vcc, 0, v5
	v_cndmask_b32_e64 v5, 0, 1, vcc
	v_lshrrev_b32_e32 v7, 8, v21
	v_bfe_u32 v11, v21, 20, 11
	v_mul_f16_sdwa v9, v61, v9 dst_sel:DWORD dst_unused:UNUSED_PAD src0_sel:WORD_1 src1_sel:DWORD
	v_and_or_b32 v5, v7, s7, v5
	v_sub_u32_e32 v13, 0x3f1, v11
	v_fma_f16 v9, v61, v22, -v9
	v_or_b32_e32 v7, 0x1000, v5
	v_med3_i32 v13, v13, 0, 13
	v_cvt_f32_f16_e32 v9, v9
	v_lshrrev_b32_e32 v20, v13, v7
	v_lshlrev_b32_e32 v13, v13, v20
	v_cmp_ne_u32_e32 vcc, v13, v7
	v_cndmask_b32_e64 v7, 0, 1, vcc
	v_add_u32_e32 v11, 0xfffffc10, v11
	v_cvt_f64_f32_e32 v[22:23], v9
	v_or_b32_e32 v7, v20, v7
	v_lshl_or_b32 v13, v11, 12, v5
	v_cmp_gt_i32_e32 vcc, 1, v11
	v_cndmask_b32_e32 v7, v13, v7, vcc
	v_and_b32_e32 v13, 7, v7
	v_cmp_lt_i32_e32 vcc, 5, v13
	v_cmp_eq_u32_e64 s[0:1], 3, v13
	v_mul_f64 v[22:23], v[22:23], s[2:3]
	v_lshrrev_b32_e32 v7, 2, v7
	s_or_b64 vcc, s[0:1], vcc
	v_addc_co_u32_e32 v7, vcc, 0, v7, vcc
	v_cmp_gt_i32_e32 vcc, 31, v11
	v_cndmask_b32_e32 v7, v15, v7, vcc
	v_cmp_ne_u32_e32 vcc, 0, v5
	v_cndmask_b32_e64 v5, 0, 1, vcc
	v_lshl_or_b32 v5, v5, 9, v15
	v_cmp_eq_u32_e32 vcc, s10, v11
	v_cndmask_b32_e32 v5, v7, v5, vcc
	v_lshrrev_b32_e32 v7, 16, v21
	v_and_or_b32 v7, v7, s11, v5
	v_and_or_b32 v5, v23, s6, v22
	v_cmp_ne_u32_e32 vcc, 0, v5
	v_cndmask_b32_e64 v5, 0, 1, vcc
	v_lshrrev_b32_e32 v9, 8, v23
	v_bfe_u32 v11, v23, 20, 11
	v_and_or_b32 v5, v9, s7, v5
	v_sub_u32_e32 v13, 0x3f1, v11
	v_or_b32_e32 v9, 0x1000, v5
	v_med3_i32 v13, v13, 0, 13
	v_lshrrev_b32_e32 v20, v13, v9
	v_lshlrev_b32_e32 v13, v13, v20
	v_cmp_ne_u32_e32 vcc, v13, v9
	v_cndmask_b32_e64 v9, 0, 1, vcc
	v_add_u32_e32 v11, 0xfffffc10, v11
	v_or_b32_e32 v9, v20, v9
	v_lshl_or_b32 v13, v11, 12, v5
	v_cmp_gt_i32_e32 vcc, 1, v11
	v_cndmask_b32_e32 v9, v13, v9, vcc
	v_and_b32_e32 v13, 7, v9
	v_cmp_lt_i32_e32 vcc, 5, v13
	v_cmp_eq_u32_e64 s[0:1], 3, v13
	v_lshrrev_b32_e32 v9, 2, v9
	s_or_b64 vcc, s[0:1], vcc
	v_addc_co_u32_e32 v9, vcc, 0, v9, vcc
	v_cmp_gt_i32_e32 vcc, 31, v11
	v_cndmask_b32_e32 v9, v15, v9, vcc
	v_cmp_ne_u32_e32 vcc, 0, v5
	v_cndmask_b32_e64 v5, 0, 1, vcc
	v_cmp_eq_u32_e32 vcc, s10, v11
	v_lshrrev_b32_e32 v11, 16, v12
	v_mad_u64_u32 v[20:21], s[0:1], s8, v59, 0
	v_mul_f16_sdwa v13, v58, v11 dst_sel:DWORD dst_unused:UNUSED_PAD src0_sel:WORD_1 src1_sel:DWORD
	v_fma_f16 v13, v58, v12, v13
	v_cvt_f32_f16_e32 v13, v13
	v_lshl_or_b32 v5, v5, 9, v15
	v_cndmask_b32_e32 v9, v9, v5, vcc
	v_mov_b32_e32 v5, v21
	v_mad_u64_u32 v[21:22], s[0:1], s9, v59, v[5:6]
	v_lshrrev_b32_e32 v5, 16, v23
	v_cvt_f64_f32_e32 v[22:23], v13
	v_lshlrev_b64 v[20:21], 2, v[20:21]
	v_and_or_b32 v5, v5, s11, v9
	v_and_b32_e32 v7, 0xffff, v7
	v_mul_f64 v[22:23], v[22:23], s[2:3]
	v_add_co_u32_e32 v20, vcc, v16, v20
	v_lshl_or_b32 v5, v5, 16, v7
	v_addc_co_u32_e32 v21, vcc, v17, v21, vcc
	global_store_dword v[20:21], v5, off
	v_mul_f16_sdwa v12, v58, v12 dst_sel:DWORD dst_unused:UNUSED_PAD src0_sel:WORD_1 src1_sel:DWORD
	v_and_or_b32 v5, v23, s6, v22
	v_cmp_ne_u32_e32 vcc, 0, v5
	v_cndmask_b32_e64 v5, 0, 1, vcc
	v_lshrrev_b32_e32 v7, 8, v23
	v_bfe_u32 v9, v23, 20, 11
	v_and_or_b32 v5, v7, s7, v5
	v_sub_u32_e32 v13, 0x3f1, v9
	v_fma_f16 v11, v58, v11, -v12
	v_or_b32_e32 v7, 0x1000, v5
	v_med3_i32 v13, v13, 0, 13
	v_cvt_f32_f16_e32 v11, v11
	v_lshrrev_b32_e32 v20, v13, v7
	v_lshlrev_b32_e32 v13, v13, v20
	v_cmp_ne_u32_e32 vcc, v13, v7
	v_cndmask_b32_e64 v7, 0, 1, vcc
	v_add_u32_e32 v9, 0xfffffc10, v9
	v_cvt_f64_f32_e32 v[11:12], v11
	v_or_b32_e32 v7, v20, v7
	v_lshl_or_b32 v13, v9, 12, v5
	v_cmp_gt_i32_e32 vcc, 1, v9
	v_cndmask_b32_e32 v7, v13, v7, vcc
	v_and_b32_e32 v13, 7, v7
	v_cmp_lt_i32_e32 vcc, 5, v13
	v_cmp_eq_u32_e64 s[0:1], 3, v13
	v_mul_f64 v[12:13], v[11:12], s[2:3]
	v_lshrrev_b32_e32 v7, 2, v7
	s_or_b64 vcc, s[0:1], vcc
	v_addc_co_u32_e32 v7, vcc, 0, v7, vcc
	v_cmp_gt_i32_e32 vcc, 31, v9
	v_cndmask_b32_e32 v7, v15, v7, vcc
	v_cmp_ne_u32_e32 vcc, 0, v5
	v_cndmask_b32_e64 v5, 0, 1, vcc
	v_lshl_or_b32 v5, v5, 9, v15
	v_cmp_eq_u32_e32 vcc, s10, v9
	v_cndmask_b32_e32 v5, v7, v5, vcc
	v_lshrrev_b32_e32 v7, 16, v23
	v_and_or_b32 v5, v7, s11, v5
	v_and_or_b32 v7, v13, s6, v12
	v_cmp_ne_u32_e32 vcc, 0, v7
	v_cndmask_b32_e64 v7, 0, 1, vcc
	v_lshrrev_b32_e32 v9, 8, v13
	v_bfe_u32 v11, v13, 20, 11
	v_and_or_b32 v7, v9, s7, v7
	v_sub_u32_e32 v12, 0x3f1, v11
	v_or_b32_e32 v9, 0x1000, v7
	v_med3_i32 v12, v12, 0, 13
	v_lshrrev_b32_e32 v20, v12, v9
	v_lshlrev_b32_e32 v12, v12, v20
	v_cmp_ne_u32_e32 vcc, v12, v9
	v_cndmask_b32_e64 v9, 0, 1, vcc
	v_or_b32_e32 v9, v20, v9
	v_add_u32_e32 v20, 0xfffffc10, v11
	v_lshl_or_b32 v11, v20, 12, v7
	v_cmp_gt_i32_e32 vcc, 1, v20
	v_cndmask_b32_e32 v9, v11, v9, vcc
	v_and_b32_e32 v11, 7, v9
	v_cmp_lt_i32_e32 vcc, 5, v11
	v_cmp_eq_u32_e64 s[0:1], 3, v11
	ds_read2_b32 v[11:12], v53 offset0:110 offset1:115
	v_lshrrev_b32_e32 v9, 2, v9
	s_or_b64 vcc, s[0:1], vcc
	v_addc_co_u32_e32 v9, vcc, 0, v9, vcc
	s_waitcnt lgkmcnt(0)
	v_lshrrev_b32_e32 v22, 16, v11
	v_mul_f16_sdwa v21, v56, v22 dst_sel:DWORD dst_unused:UNUSED_PAD src0_sel:WORD_1 src1_sel:DWORD
	v_fma_f16 v21, v56, v11, v21
	v_cvt_f32_f16_e32 v21, v21
	v_cmp_gt_i32_e32 vcc, 31, v20
	v_cndmask_b32_e32 v9, v15, v9, vcc
	v_cmp_ne_u32_e32 vcc, 0, v7
	v_cndmask_b32_e64 v7, 0, 1, vcc
	v_cmp_eq_u32_e32 vcc, s10, v20
	v_cvt_f64_f32_e32 v[20:21], v21
	v_lshl_or_b32 v7, v7, 9, v15
	v_cndmask_b32_e32 v7, v9, v7, vcc
	v_lshrrev_b32_e32 v9, 16, v13
	v_mul_f64 v[20:21], v[20:21], s[2:3]
	v_and_or_b32 v7, v9, s11, v7
	v_and_b32_e32 v5, 0xffff, v5
	v_lshl_or_b32 v5, v7, 16, v5
	v_mov_b32_e32 v7, s12
	v_add_co_u32_e32 v18, vcc, s13, v18
	v_addc_co_u32_e32 v19, vcc, v19, v7, vcc
	global_store_dword v[18:19], v5, off
	v_and_or_b32 v5, v21, s6, v20
	v_cmp_ne_u32_e32 vcc, 0, v5
	v_cndmask_b32_e64 v5, 0, 1, vcc
	v_lshrrev_b32_e32 v7, 8, v21
	v_bfe_u32 v9, v21, 20, 11
	v_mul_f16_sdwa v11, v56, v11 dst_sel:DWORD dst_unused:UNUSED_PAD src0_sel:WORD_1 src1_sel:DWORD
	v_and_or_b32 v5, v7, s7, v5
	v_sub_u32_e32 v13, 0x3f1, v9
	v_fma_f16 v11, v56, v22, -v11
	v_or_b32_e32 v7, 0x1000, v5
	v_med3_i32 v13, v13, 0, 13
	v_cvt_f32_f16_e32 v11, v11
	v_lshrrev_b32_e32 v20, v13, v7
	v_lshlrev_b32_e32 v13, v13, v20
	v_cmp_ne_u32_e32 vcc, v13, v7
	v_cndmask_b32_e64 v7, 0, 1, vcc
	v_add_u32_e32 v9, 0xfffffc10, v9
	v_cvt_f64_f32_e32 v[22:23], v11
	v_or_b32_e32 v7, v20, v7
	v_lshl_or_b32 v13, v9, 12, v5
	v_cmp_gt_i32_e32 vcc, 1, v9
	v_cndmask_b32_e32 v7, v13, v7, vcc
	v_and_b32_e32 v13, 7, v7
	v_cmp_lt_i32_e32 vcc, 5, v13
	v_cmp_eq_u32_e64 s[0:1], 3, v13
	v_mul_f64 v[22:23], v[22:23], s[2:3]
	v_lshrrev_b32_e32 v7, 2, v7
	s_or_b64 vcc, s[0:1], vcc
	v_addc_co_u32_e32 v7, vcc, 0, v7, vcc
	v_cmp_gt_i32_e32 vcc, 31, v9
	v_cndmask_b32_e32 v7, v15, v7, vcc
	v_cmp_ne_u32_e32 vcc, 0, v5
	v_cndmask_b32_e64 v5, 0, 1, vcc
	v_lshl_or_b32 v5, v5, 9, v15
	v_cmp_eq_u32_e32 vcc, s10, v9
	v_cndmask_b32_e32 v5, v7, v5, vcc
	v_lshrrev_b32_e32 v7, 16, v21
	v_and_or_b32 v5, v7, s11, v5
	v_and_or_b32 v7, v23, s6, v22
	v_cmp_ne_u32_e32 vcc, 0, v7
	v_cndmask_b32_e64 v7, 0, 1, vcc
	v_lshrrev_b32_e32 v9, 8, v23
	v_bfe_u32 v11, v23, 20, 11
	v_and_or_b32 v7, v9, s7, v7
	v_sub_u32_e32 v13, 0x3f1, v11
	v_or_b32_e32 v9, 0x1000, v7
	v_med3_i32 v13, v13, 0, 13
	v_lshrrev_b32_e32 v20, v13, v9
	v_lshlrev_b32_e32 v13, v13, v20
	v_cmp_ne_u32_e32 vcc, v13, v9
	v_cndmask_b32_e64 v9, 0, 1, vcc
	v_add_u32_e32 v11, 0xfffffc10, v11
	v_or_b32_e32 v9, v20, v9
	v_lshl_or_b32 v13, v11, 12, v7
	v_cmp_gt_i32_e32 vcc, 1, v11
	v_cndmask_b32_e32 v9, v13, v9, vcc
	v_and_b32_e32 v13, 7, v9
	v_cmp_lt_i32_e32 vcc, 5, v13
	v_cmp_eq_u32_e64 s[0:1], 3, v13
	v_lshrrev_b32_e32 v13, 16, v14
	v_mul_f16_sdwa v20, v55, v13 dst_sel:DWORD dst_unused:UNUSED_PAD src0_sel:WORD_1 src1_sel:DWORD
	v_fma_f16 v20, v55, v14, v20
	v_cvt_f32_f16_e32 v20, v20
	v_lshrrev_b32_e32 v9, 2, v9
	s_or_b64 vcc, s[0:1], vcc
	v_addc_co_u32_e32 v9, vcc, 0, v9, vcc
	v_cvt_f64_f32_e32 v[20:21], v20
	v_cmp_gt_i32_e32 vcc, 31, v11
	v_cndmask_b32_e32 v9, v15, v9, vcc
	v_cmp_ne_u32_e32 vcc, 0, v7
	v_mul_f64 v[20:21], v[20:21], s[2:3]
	v_cndmask_b32_e64 v7, 0, 1, vcc
	v_lshl_or_b32 v7, v7, 9, v15
	v_cmp_eq_u32_e32 vcc, s10, v11
	v_cndmask_b32_e32 v7, v9, v7, vcc
	v_lshrrev_b32_e32 v9, 16, v23
	v_and_or_b32 v7, v9, s11, v7
	v_and_b32_e32 v5, 0xffff, v5
	v_lshl_or_b32 v5, v7, 16, v5
	v_mov_b32_e32 v7, s4
	v_add_co_u32_e32 v18, vcc, s5, v18
	v_addc_co_u32_e32 v19, vcc, v19, v7, vcc
	global_store_dword v[18:19], v5, off
	v_and_or_b32 v5, v21, s6, v20
	v_cmp_ne_u32_e32 vcc, 0, v5
	v_cndmask_b32_e64 v5, 0, 1, vcc
	v_lshrrev_b32_e32 v7, 8, v21
	v_bfe_u32 v9, v21, 20, 11
	v_mul_f16_sdwa v14, v55, v14 dst_sel:DWORD dst_unused:UNUSED_PAD src0_sel:WORD_1 src1_sel:DWORD
	v_and_or_b32 v5, v7, s7, v5
	v_sub_u32_e32 v11, 0x3f1, v9
	v_fma_f16 v13, v55, v13, -v14
	v_or_b32_e32 v7, 0x1000, v5
	v_med3_i32 v11, v11, 0, 13
	v_cvt_f32_f16_e32 v13, v13
	v_lshrrev_b32_e32 v20, v11, v7
	v_lshlrev_b32_e32 v11, v11, v20
	v_cmp_ne_u32_e32 vcc, v11, v7
	v_cndmask_b32_e64 v7, 0, 1, vcc
	v_add_u32_e32 v9, 0xfffffc10, v9
	v_cvt_f64_f32_e32 v[13:14], v13
	v_or_b32_e32 v7, v20, v7
	v_lshl_or_b32 v11, v9, 12, v5
	v_cmp_gt_i32_e32 vcc, 1, v9
	v_cndmask_b32_e32 v7, v11, v7, vcc
	v_and_b32_e32 v11, 7, v7
	v_cmp_lt_i32_e32 vcc, 5, v11
	v_cmp_eq_u32_e64 s[0:1], 3, v11
	v_mul_f64 v[22:23], v[13:14], s[2:3]
	v_lshrrev_b32_e32 v7, 2, v7
	s_or_b64 vcc, s[0:1], vcc
	v_addc_co_u32_e32 v7, vcc, 0, v7, vcc
	v_cmp_gt_i32_e32 vcc, 31, v9
	v_cndmask_b32_e32 v7, v15, v7, vcc
	v_cmp_ne_u32_e32 vcc, 0, v5
	v_cndmask_b32_e64 v5, 0, 1, vcc
	v_lshl_or_b32 v5, v5, 9, v15
	v_cmp_eq_u32_e32 vcc, s10, v9
	v_cndmask_b32_e32 v5, v7, v5, vcc
	v_lshrrev_b32_e32 v7, 16, v21
	v_and_or_b32 v5, v7, s11, v5
	v_and_or_b32 v7, v23, s6, v22
	v_cmp_ne_u32_e32 vcc, 0, v7
	v_cndmask_b32_e64 v7, 0, 1, vcc
	v_lshrrev_b32_e32 v9, 8, v23
	v_bfe_u32 v11, v23, 20, 11
	v_and_or_b32 v7, v9, s7, v7
	v_sub_u32_e32 v13, 0x3f1, v11
	v_or_b32_e32 v9, 0x1000, v7
	v_med3_i32 v13, v13, 0, 13
	v_lshrrev_b32_e32 v14, v13, v9
	v_lshlrev_b32_e32 v13, v13, v14
	v_cmp_ne_u32_e32 vcc, v13, v9
	v_cndmask_b32_e64 v9, 0, 1, vcc
	v_add_u32_e32 v11, 0xfffffc10, v11
	v_or_b32_e32 v9, v14, v9
	v_lshl_or_b32 v13, v11, 12, v7
	v_cmp_gt_i32_e32 vcc, 1, v11
	v_cndmask_b32_e32 v9, v13, v9, vcc
	v_and_b32_e32 v13, 7, v9
	v_cmp_lt_i32_e32 vcc, 5, v13
	v_cmp_eq_u32_e64 s[0:1], 3, v13
	ds_read2_b32 v[13:14], v53 offset0:140 offset1:145
	v_lshrrev_b32_e32 v9, 2, v9
	s_or_b64 vcc, s[0:1], vcc
	v_addc_co_u32_e32 v9, vcc, 0, v9, vcc
	s_waitcnt lgkmcnt(0)
	v_lshrrev_b32_e32 v22, 16, v13
	v_mul_f16_sdwa v20, v54, v22 dst_sel:DWORD dst_unused:UNUSED_PAD src0_sel:WORD_1 src1_sel:DWORD
	v_fma_f16 v20, v54, v13, v20
	v_cvt_f32_f16_e32 v20, v20
	v_cmp_gt_i32_e32 vcc, 31, v11
	v_cndmask_b32_e32 v9, v15, v9, vcc
	v_cmp_ne_u32_e32 vcc, 0, v7
	v_cvt_f64_f32_e32 v[20:21], v20
	v_cndmask_b32_e64 v7, 0, 1, vcc
	v_lshl_or_b32 v7, v7, 9, v15
	v_cmp_eq_u32_e32 vcc, s10, v11
	v_mul_f64 v[20:21], v[20:21], s[2:3]
	v_cndmask_b32_e32 v7, v9, v7, vcc
	v_lshrrev_b32_e32 v9, 16, v23
	v_and_or_b32 v7, v9, s11, v7
	v_and_b32_e32 v5, 0xffff, v5
	v_lshl_or_b32 v5, v7, 16, v5
	v_mov_b32_e32 v7, s4
	v_add_co_u32_e32 v18, vcc, s5, v18
	v_addc_co_u32_e32 v19, vcc, v19, v7, vcc
	global_store_dword v[18:19], v5, off
	v_and_or_b32 v5, v21, s6, v20
	v_cmp_ne_u32_e32 vcc, 0, v5
	v_cndmask_b32_e64 v5, 0, 1, vcc
	v_lshrrev_b32_e32 v7, 8, v21
	v_bfe_u32 v9, v21, 20, 11
	v_mul_f16_sdwa v13, v54, v13 dst_sel:DWORD dst_unused:UNUSED_PAD src0_sel:WORD_1 src1_sel:DWORD
	v_and_or_b32 v5, v7, s7, v5
	v_sub_u32_e32 v11, 0x3f1, v9
	v_fma_f16 v13, v54, v22, -v13
	v_or_b32_e32 v7, 0x1000, v5
	v_med3_i32 v11, v11, 0, 13
	v_cvt_f32_f16_e32 v13, v13
	v_lshrrev_b32_e32 v20, v11, v7
	v_lshlrev_b32_e32 v11, v11, v20
	v_cmp_ne_u32_e32 vcc, v11, v7
	v_cndmask_b32_e64 v7, 0, 1, vcc
	v_add_u32_e32 v9, 0xfffffc10, v9
	v_cvt_f64_f32_e32 v[22:23], v13
	v_or_b32_e32 v7, v20, v7
	v_lshl_or_b32 v11, v9, 12, v5
	v_cmp_gt_i32_e32 vcc, 1, v9
	v_cndmask_b32_e32 v7, v11, v7, vcc
	v_and_b32_e32 v11, 7, v7
	v_cmp_lt_i32_e32 vcc, 5, v11
	v_cmp_eq_u32_e64 s[0:1], 3, v11
	v_mul_f64 v[22:23], v[22:23], s[2:3]
	v_lshrrev_b32_e32 v7, 2, v7
	s_or_b64 vcc, s[0:1], vcc
	v_addc_co_u32_e32 v7, vcc, 0, v7, vcc
	v_cmp_gt_i32_e32 vcc, 31, v9
	v_cndmask_b32_e32 v7, v15, v7, vcc
	v_cmp_ne_u32_e32 vcc, 0, v5
	v_cndmask_b32_e64 v5, 0, 1, vcc
	v_lshl_or_b32 v5, v5, 9, v15
	v_cmp_eq_u32_e32 vcc, s10, v9
	v_cndmask_b32_e32 v5, v7, v5, vcc
	v_lshrrev_b32_e32 v7, 16, v21
	v_and_or_b32 v5, v7, s11, v5
	v_and_or_b32 v7, v23, s6, v22
	v_cmp_ne_u32_e32 vcc, 0, v7
	v_cndmask_b32_e64 v7, 0, 1, vcc
	v_lshrrev_b32_e32 v9, 8, v23
	v_bfe_u32 v11, v23, 20, 11
	v_and_or_b32 v7, v9, s7, v7
	v_sub_u32_e32 v13, 0x3f1, v11
	v_or_b32_e32 v9, 0x1000, v7
	v_med3_i32 v13, v13, 0, 13
	v_lshrrev_b32_e32 v20, v13, v9
	v_lshlrev_b32_e32 v13, v13, v20
	v_cmp_ne_u32_e32 vcc, v13, v9
	v_cndmask_b32_e64 v9, 0, 1, vcc
	v_add_u32_e32 v11, 0xfffffc10, v11
	v_or_b32_e32 v9, v20, v9
	v_lshl_or_b32 v13, v11, 12, v7
	v_cmp_gt_i32_e32 vcc, 1, v11
	v_cndmask_b32_e32 v9, v13, v9, vcc
	v_and_b32_e32 v13, 7, v9
	v_cmp_lt_i32_e32 vcc, 5, v13
	v_cmp_eq_u32_e64 s[0:1], 3, v13
	v_lshrrev_b32_e32 v13, 16, v0
	v_mul_f16_sdwa v20, v50, v13 dst_sel:DWORD dst_unused:UNUSED_PAD src0_sel:WORD_1 src1_sel:DWORD
	v_fma_f16 v20, v50, v0, v20
	v_cvt_f32_f16_e32 v20, v20
	v_lshrrev_b32_e32 v9, 2, v9
	s_or_b64 vcc, s[0:1], vcc
	v_addc_co_u32_e32 v9, vcc, 0, v9, vcc
	v_cvt_f64_f32_e32 v[20:21], v20
	v_cmp_gt_i32_e32 vcc, 31, v11
	v_cndmask_b32_e32 v9, v15, v9, vcc
	v_cmp_ne_u32_e32 vcc, 0, v7
	v_mul_f64 v[20:21], v[20:21], s[2:3]
	v_cndmask_b32_e64 v7, 0, 1, vcc
	v_lshl_or_b32 v7, v7, 9, v15
	v_cmp_eq_u32_e32 vcc, s10, v11
	v_cndmask_b32_e32 v7, v9, v7, vcc
	v_lshrrev_b32_e32 v9, 16, v23
	v_and_or_b32 v7, v9, s11, v7
	v_and_b32_e32 v5, 0xffff, v5
	v_lshl_or_b32 v5, v7, 16, v5
	v_mov_b32_e32 v7, s4
	v_add_co_u32_e32 v18, vcc, s5, v18
	v_addc_co_u32_e32 v19, vcc, v19, v7, vcc
	global_store_dword v[18:19], v5, off
	v_and_or_b32 v5, v21, s6, v20
	v_cmp_ne_u32_e32 vcc, 0, v5
	v_cndmask_b32_e64 v5, 0, 1, vcc
	v_lshrrev_b32_e32 v7, 8, v21
	v_bfe_u32 v9, v21, 20, 11
	v_mul_f16_sdwa v0, v50, v0 dst_sel:DWORD dst_unused:UNUSED_PAD src0_sel:WORD_1 src1_sel:DWORD
	v_and_or_b32 v5, v7, s7, v5
	v_sub_u32_e32 v11, 0x3f1, v9
	v_fma_f16 v0, v50, v13, -v0
	v_or_b32_e32 v7, 0x1000, v5
	v_med3_i32 v11, v11, 0, 13
	v_cvt_f32_f16_e32 v0, v0
	v_lshrrev_b32_e32 v20, v11, v7
	v_lshlrev_b32_e32 v11, v11, v20
	v_cmp_ne_u32_e32 vcc, v11, v7
	v_cndmask_b32_e64 v7, 0, 1, vcc
	v_add_u32_e32 v9, 0xfffffc10, v9
	v_cvt_f64_f32_e32 v[22:23], v0
	v_or_b32_e32 v7, v20, v7
	v_lshl_or_b32 v11, v9, 12, v5
	v_cmp_gt_i32_e32 vcc, 1, v9
	v_cndmask_b32_e32 v7, v11, v7, vcc
	v_and_b32_e32 v11, 7, v7
	v_cmp_lt_i32_e32 vcc, 5, v11
	v_cmp_eq_u32_e64 s[0:1], 3, v11
	v_mul_f64 v[22:23], v[22:23], s[2:3]
	v_lshrrev_b32_e32 v7, 2, v7
	s_or_b64 vcc, s[0:1], vcc
	v_addc_co_u32_e32 v0, vcc, 0, v7, vcc
	v_cmp_gt_i32_e32 vcc, 31, v9
	v_cndmask_b32_e32 v0, v15, v0, vcc
	v_cmp_ne_u32_e32 vcc, 0, v5
	v_cndmask_b32_e64 v5, 0, 1, vcc
	v_lshl_or_b32 v5, v5, 9, v15
	v_cmp_eq_u32_e32 vcc, s10, v9
	v_cndmask_b32_e32 v0, v0, v5, vcc
	v_lshrrev_b32_e32 v5, 16, v21
	v_and_or_b32 v0, v5, s11, v0
	v_and_or_b32 v5, v23, s6, v22
	v_cmp_ne_u32_e32 vcc, 0, v5
	v_cndmask_b32_e64 v5, 0, 1, vcc
	v_lshrrev_b32_e32 v7, 8, v23
	v_bfe_u32 v9, v23, 20, 11
	v_and_or_b32 v5, v7, s7, v5
	v_sub_u32_e32 v11, 0x3f1, v9
	v_or_b32_e32 v7, 0x1000, v5
	v_med3_i32 v11, v11, 0, 13
	v_lshrrev_b32_e32 v13, v11, v7
	v_lshlrev_b32_e32 v11, v11, v13
	v_cmp_ne_u32_e32 vcc, v11, v7
	v_cndmask_b32_e64 v7, 0, 1, vcc
	v_add_u32_e32 v9, 0xfffffc10, v9
	v_or_b32_e32 v7, v13, v7
	v_lshl_or_b32 v11, v9, 12, v5
	v_cmp_gt_i32_e32 vcc, 1, v9
	v_cndmask_b32_e32 v7, v11, v7, vcc
	v_and_b32_e32 v11, 7, v7
	v_cmp_lt_i32_e32 vcc, 5, v11
	v_cmp_eq_u32_e64 s[0:1], 3, v11
	v_lshrrev_b32_e32 v11, 16, v6
	v_mul_f16_sdwa v13, v49, v11 dst_sel:DWORD dst_unused:UNUSED_PAD src0_sel:WORD_1 src1_sel:DWORD
	v_fma_f16 v13, v49, v6, v13
	v_cvt_f32_f16_e32 v13, v13
	v_lshrrev_b32_e32 v7, 2, v7
	s_or_b64 vcc, s[0:1], vcc
	v_addc_co_u32_e32 v7, vcc, 0, v7, vcc
	v_cvt_f64_f32_e32 v[20:21], v13
	v_cmp_gt_i32_e32 vcc, 31, v9
	v_cndmask_b32_e32 v7, v15, v7, vcc
	v_cmp_ne_u32_e32 vcc, 0, v5
	v_mul_f64 v[20:21], v[20:21], s[2:3]
	v_cndmask_b32_e64 v5, 0, 1, vcc
	v_mad_u64_u32 v[18:19], s[0:1], s8, v52, v[18:19]
	v_lshl_or_b32 v5, v5, 9, v15
	v_cmp_eq_u32_e32 vcc, s10, v9
	v_cndmask_b32_e32 v5, v7, v5, vcc
	v_lshrrev_b32_e32 v7, 16, v23
	v_and_or_b32 v5, v7, s11, v5
	v_and_b32_e32 v0, 0xffff, v0
	v_lshl_or_b32 v0, v5, 16, v0
	v_add_u32_e32 v19, s14, v19
	global_store_dword v[18:19], v0, off
	v_and_or_b32 v0, v21, s6, v20
	v_cmp_ne_u32_e32 vcc, 0, v0
	v_cndmask_b32_e64 v0, 0, 1, vcc
	v_lshrrev_b32_e32 v5, 8, v21
	v_bfe_u32 v7, v21, 20, 11
	v_and_or_b32 v0, v5, s7, v0
	v_sub_u32_e32 v9, 0x3f1, v7
	v_or_b32_e32 v5, 0x1000, v0
	v_med3_i32 v9, v9, 0, 13
	v_lshrrev_b32_e32 v13, v9, v5
	v_lshlrev_b32_e32 v9, v9, v13
	v_mul_f16_sdwa v6, v49, v6 dst_sel:DWORD dst_unused:UNUSED_PAD src0_sel:WORD_1 src1_sel:DWORD
	v_cmp_ne_u32_e32 vcc, v9, v5
	v_fma_f16 v6, v49, v11, -v6
	v_cndmask_b32_e64 v5, 0, 1, vcc
	v_add_u32_e32 v7, 0xfffffc10, v7
	v_cvt_f32_f16_e32 v6, v6
	v_or_b32_e32 v5, v13, v5
	v_lshl_or_b32 v9, v7, 12, v0
	v_cmp_gt_i32_e32 vcc, 1, v7
	v_cndmask_b32_e32 v5, v9, v5, vcc
	v_and_b32_e32 v9, 7, v5
	v_cmp_lt_i32_e32 vcc, 5, v9
	v_cmp_eq_u32_e64 s[0:1], 3, v9
	v_lshrrev_b32_e32 v9, 2, v5
	v_cvt_f64_f32_e32 v[5:6], v6
	s_or_b64 vcc, s[0:1], vcc
	v_addc_co_u32_e32 v9, vcc, 0, v9, vcc
	v_mul_f64 v[5:6], v[5:6], s[2:3]
	v_cmp_gt_i32_e32 vcc, 31, v7
	v_cndmask_b32_e32 v9, v15, v9, vcc
	v_cmp_ne_u32_e32 vcc, 0, v0
	v_cndmask_b32_e64 v0, 0, 1, vcc
	v_lshl_or_b32 v0, v0, 9, v15
	v_cmp_eq_u32_e32 vcc, s10, v7
	v_cndmask_b32_e32 v0, v9, v0, vcc
	v_and_or_b32 v5, v6, s6, v5
	v_lshrrev_b32_e32 v7, 16, v21
	v_cmp_ne_u32_e32 vcc, 0, v5
	v_and_or_b32 v0, v7, s11, v0
	v_cndmask_b32_e64 v5, 0, 1, vcc
	v_lshrrev_b32_e32 v7, 8, v6
	v_bfe_u32 v9, v6, 20, 11
	v_and_or_b32 v5, v7, s7, v5
	v_sub_u32_e32 v11, 0x3f1, v9
	v_or_b32_e32 v7, 0x1000, v5
	v_med3_i32 v11, v11, 0, 13
	v_lshrrev_b32_e32 v13, v11, v7
	v_lshlrev_b32_e32 v11, v11, v13
	v_cmp_ne_u32_e32 vcc, v11, v7
	v_cndmask_b32_e64 v7, 0, 1, vcc
	v_add_u32_e32 v9, 0xfffffc10, v9
	v_or_b32_e32 v7, v13, v7
	v_lshl_or_b32 v11, v9, 12, v5
	v_cmp_gt_i32_e32 vcc, 1, v9
	v_cndmask_b32_e32 v7, v11, v7, vcc
	v_and_b32_e32 v11, 7, v7
	v_cmp_lt_i32_e32 vcc, 5, v11
	v_cmp_eq_u32_e64 s[0:1], 3, v11
	v_lshrrev_b32_e32 v11, 16, v1
	v_mul_f16_sdwa v13, v48, v11 dst_sel:DWORD dst_unused:UNUSED_PAD src0_sel:WORD_1 src1_sel:DWORD
	v_fma_f16 v13, v48, v1, v13
	v_cvt_f32_f16_e32 v13, v13
	v_lshrrev_b32_e32 v7, 2, v7
	s_or_b64 vcc, s[0:1], vcc
	v_addc_co_u32_e32 v7, vcc, 0, v7, vcc
	v_cmp_gt_i32_e32 vcc, 31, v9
	v_cndmask_b32_e32 v7, v15, v7, vcc
	v_cmp_ne_u32_e32 vcc, 0, v5
	v_cvt_f64_f32_e32 v[20:21], v13
	v_cndmask_b32_e64 v5, 0, 1, vcc
	v_lshl_or_b32 v5, v5, 9, v15
	v_cmp_eq_u32_e32 vcc, s10, v9
	v_cndmask_b32_e32 v5, v7, v5, vcc
	v_lshrrev_b32_e32 v6, 16, v6
	v_and_or_b32 v7, v6, s11, v5
	v_mul_f64 v[5:6], v[20:21], s[2:3]
	v_and_b32_e32 v0, 0xffff, v0
	v_lshl_or_b32 v0, v7, 16, v0
	v_mov_b32_e32 v7, s4
	v_add_co_u32_e32 v18, vcc, s5, v18
	v_addc_co_u32_e32 v19, vcc, v19, v7, vcc
	global_store_dword v[18:19], v0, off
	v_and_or_b32 v0, v6, s6, v5
	v_cmp_ne_u32_e32 vcc, 0, v0
	v_cndmask_b32_e64 v0, 0, 1, vcc
	v_lshrrev_b32_e32 v5, 8, v6
	v_bfe_u32 v7, v6, 20, 11
	v_and_or_b32 v5, v5, s7, v0
	v_sub_u32_e32 v9, 0x3f1, v7
	v_or_b32_e32 v0, 0x1000, v5
	v_med3_i32 v9, v9, 0, 13
	v_lshrrev_b32_e32 v13, v9, v0
	v_lshlrev_b32_e32 v9, v9, v13
	v_mul_f16_sdwa v1, v48, v1 dst_sel:DWORD dst_unused:UNUSED_PAD src0_sel:WORD_1 src1_sel:DWORD
	v_cmp_ne_u32_e32 vcc, v9, v0
	v_fma_f16 v1, v48, v11, -v1
	v_cndmask_b32_e64 v0, 0, 1, vcc
	v_add_u32_e32 v7, 0xfffffc10, v7
	v_cvt_f32_f16_e32 v1, v1
	v_or_b32_e32 v0, v13, v0
	v_lshl_or_b32 v9, v7, 12, v5
	v_cmp_gt_i32_e32 vcc, 1, v7
	v_cndmask_b32_e32 v0, v9, v0, vcc
	v_and_b32_e32 v9, 7, v0
	v_cmp_lt_i32_e32 vcc, 5, v9
	v_cmp_eq_u32_e64 s[0:1], 3, v9
	v_lshrrev_b32_e32 v9, 2, v0
	v_cvt_f64_f32_e32 v[0:1], v1
	s_or_b64 vcc, s[0:1], vcc
	v_addc_co_u32_e32 v9, vcc, 0, v9, vcc
	v_mul_f64 v[0:1], v[0:1], s[2:3]
	v_cmp_gt_i32_e32 vcc, 31, v7
	v_cndmask_b32_e32 v9, v15, v9, vcc
	v_cmp_ne_u32_e32 vcc, 0, v5
	v_cndmask_b32_e64 v5, 0, 1, vcc
	v_lshl_or_b32 v5, v5, 9, v15
	v_cmp_eq_u32_e32 vcc, s10, v7
	v_cndmask_b32_e32 v5, v9, v5, vcc
	v_and_or_b32 v0, v1, s6, v0
	v_lshrrev_b32_e32 v6, 16, v6
	v_cmp_ne_u32_e32 vcc, 0, v0
	v_and_or_b32 v9, v6, s11, v5
	v_cndmask_b32_e64 v0, 0, 1, vcc
	v_lshrrev_b32_e32 v5, 8, v1
	v_bfe_u32 v6, v1, 20, 11
	v_and_or_b32 v0, v5, s7, v0
	v_sub_u32_e32 v7, 0x3f1, v6
	v_or_b32_e32 v5, 0x1000, v0
	v_med3_i32 v7, v7, 0, 13
	v_lshrrev_b32_e32 v11, v7, v5
	v_lshlrev_b32_e32 v7, v7, v11
	v_cmp_ne_u32_e32 vcc, v7, v5
	v_cndmask_b32_e64 v5, 0, 1, vcc
	v_add_u32_e32 v7, 0xfffffc10, v6
	v_or_b32_e32 v5, v11, v5
	v_lshl_or_b32 v6, v7, 12, v0
	v_cmp_gt_i32_e32 vcc, 1, v7
	v_cndmask_b32_e32 v5, v6, v5, vcc
	v_and_b32_e32 v6, 7, v5
	v_cmp_lt_i32_e32 vcc, 5, v6
	v_cmp_eq_u32_e64 s[0:1], 3, v6
	v_lshrrev_b32_e32 v5, 2, v5
	s_or_b64 vcc, s[0:1], vcc
	v_addc_co_u32_e32 v5, vcc, 0, v5, vcc
	v_cmp_gt_i32_e32 vcc, 31, v7
	v_cndmask_b32_e32 v11, v15, v5, vcc
	v_mad_u64_u32 v[5:6], s[0:1], s8, v51, 0
	v_cmp_ne_u32_e32 vcc, 0, v0
	v_cndmask_b32_e64 v0, 0, 1, vcc
	v_lshl_or_b32 v0, v0, 9, v15
	v_cmp_eq_u32_e32 vcc, s10, v7
	v_lshrrev_b32_e32 v13, 16, v8
	v_cndmask_b32_e32 v11, v11, v0, vcc
	v_mov_b32_e32 v0, v6
	v_mul_f16_sdwa v6, v47, v13 dst_sel:DWORD dst_unused:UNUSED_PAD src0_sel:WORD_1 src1_sel:DWORD
	v_fma_f16 v6, v47, v8, v6
	v_cvt_f32_f16_e32 v20, v6
	v_mad_u64_u32 v[6:7], s[0:1], s9, v51, v[0:1]
	v_lshrrev_b32_e32 v7, 16, v1
	v_cvt_f64_f32_e32 v[0:1], v20
	v_lshlrev_b64 v[5:6], 2, v[5:6]
	v_and_or_b32 v7, v7, s11, v11
	v_add_co_u32_e32 v5, vcc, v16, v5
	v_mul_f64 v[0:1], v[0:1], s[2:3]
	v_and_b32_e32 v9, 0xffff, v9
	v_addc_co_u32_e32 v6, vcc, v17, v6, vcc
	v_lshl_or_b32 v7, v7, 16, v9
	global_store_dword v[5:6], v7, off
	v_mul_f16_sdwa v8, v47, v8 dst_sel:DWORD dst_unused:UNUSED_PAD src0_sel:WORD_1 src1_sel:DWORD
	v_fma_f16 v8, v47, v13, -v8
	v_and_or_b32 v0, v1, s6, v0
	v_cmp_ne_u32_e32 vcc, 0, v0
	v_cndmask_b32_e64 v0, 0, 1, vcc
	v_lshrrev_b32_e32 v5, 8, v1
	v_bfe_u32 v6, v1, 20, 11
	v_and_or_b32 v0, v5, s7, v0
	v_sub_u32_e32 v7, 0x3f1, v6
	v_or_b32_e32 v5, 0x1000, v0
	v_med3_i32 v7, v7, 0, 13
	v_lshrrev_b32_e32 v9, v7, v5
	v_lshlrev_b32_e32 v7, v7, v9
	v_cmp_ne_u32_e32 vcc, v7, v5
	v_cndmask_b32_e64 v5, 0, 1, vcc
	v_add_u32_e32 v7, 0xfffffc10, v6
	v_cvt_f32_f16_e32 v8, v8
	v_or_b32_e32 v5, v9, v5
	v_lshl_or_b32 v6, v7, 12, v0
	v_cmp_gt_i32_e32 vcc, 1, v7
	v_cndmask_b32_e32 v5, v6, v5, vcc
	v_and_b32_e32 v6, 7, v5
	v_cmp_lt_i32_e32 vcc, 5, v6
	v_cmp_eq_u32_e64 s[0:1], 3, v6
	v_lshrrev_b32_e32 v9, 2, v5
	v_cvt_f64_f32_e32 v[5:6], v8
	s_or_b64 vcc, s[0:1], vcc
	v_addc_co_u32_e32 v8, vcc, 0, v9, vcc
	v_mul_f64 v[5:6], v[5:6], s[2:3]
	v_cmp_gt_i32_e32 vcc, 31, v7
	v_cndmask_b32_e32 v8, v15, v8, vcc
	v_cmp_ne_u32_e32 vcc, 0, v0
	v_cndmask_b32_e64 v0, 0, 1, vcc
	v_lshl_or_b32 v0, v0, 9, v15
	v_cmp_eq_u32_e32 vcc, s10, v7
	v_cndmask_b32_e32 v0, v8, v0, vcc
	v_lshrrev_b32_e32 v1, 16, v1
	v_and_or_b32 v7, v1, s11, v0
	v_and_or_b32 v0, v6, s6, v5
	v_cmp_ne_u32_e32 vcc, 0, v0
	v_cndmask_b32_e64 v0, 0, 1, vcc
	v_lshrrev_b32_e32 v1, 8, v6
	v_bfe_u32 v5, v6, 20, 11
	v_and_or_b32 v0, v1, s7, v0
	v_sub_u32_e32 v8, 0x3f1, v5
	v_or_b32_e32 v1, 0x1000, v0
	v_med3_i32 v8, v8, 0, 13
	v_lshrrev_b32_e32 v9, v8, v1
	v_lshlrev_b32_e32 v8, v8, v9
	v_cmp_ne_u32_e32 vcc, v8, v1
	v_cndmask_b32_e64 v1, 0, 1, vcc
	v_add_u32_e32 v5, 0xfffffc10, v5
	v_or_b32_e32 v1, v9, v1
	v_lshl_or_b32 v8, v5, 12, v0
	v_cmp_gt_i32_e32 vcc, 1, v5
	v_cndmask_b32_e32 v1, v8, v1, vcc
	v_and_b32_e32 v8, 7, v1
	v_cmp_lt_i32_e32 vcc, 5, v8
	v_cmp_eq_u32_e64 s[0:1], 3, v8
	v_lshrrev_b32_e32 v8, 16, v2
	v_lshrrev_b32_e32 v1, 2, v1
	s_or_b64 vcc, s[0:1], vcc
	v_mul_f16_sdwa v9, v45, v8 dst_sel:DWORD dst_unused:UNUSED_PAD src0_sel:WORD_1 src1_sel:DWORD
	v_addc_co_u32_e32 v1, vcc, 0, v1, vcc
	v_fma_f16 v9, v45, v2, v9
	v_cmp_gt_i32_e32 vcc, 31, v5
	v_cvt_f32_f16_e32 v9, v9
	v_cndmask_b32_e32 v1, v15, v1, vcc
	v_cmp_ne_u32_e32 vcc, 0, v0
	v_cndmask_b32_e64 v0, 0, 1, vcc
	v_lshl_or_b32 v0, v0, 9, v15
	v_cmp_eq_u32_e32 vcc, s10, v5
	v_cndmask_b32_e32 v5, v1, v0, vcc
	v_cvt_f64_f32_e32 v[0:1], v9
	v_lshrrev_b32_e32 v6, 16, v6
	v_and_or_b32 v5, v6, s11, v5
	v_and_b32_e32 v6, 0xffff, v7
	v_mul_f64 v[0:1], v[0:1], s[2:3]
	v_lshl_or_b32 v7, v5, 16, v6
	v_mov_b32_e32 v6, s12
	v_add_co_u32_e32 v5, vcc, s13, v18
	v_addc_co_u32_e32 v6, vcc, v19, v6, vcc
	global_store_dword v[5:6], v7, off
	v_and_or_b32 v0, v1, s6, v0
	v_cmp_ne_u32_e32 vcc, 0, v0
	v_cndmask_b32_e64 v0, 0, 1, vcc
	v_lshrrev_b32_e32 v7, 8, v1
	v_bfe_u32 v9, v1, 20, 11
	v_and_or_b32 v0, v7, s7, v0
	v_sub_u32_e32 v11, 0x3f1, v9
	v_or_b32_e32 v7, 0x1000, v0
	v_med3_i32 v11, v11, 0, 13
	v_lshrrev_b32_e32 v13, v11, v7
	v_lshlrev_b32_e32 v11, v11, v13
	v_mul_f16_sdwa v2, v45, v2 dst_sel:DWORD dst_unused:UNUSED_PAD src0_sel:WORD_1 src1_sel:DWORD
	v_cmp_ne_u32_e32 vcc, v11, v7
	v_fma_f16 v2, v45, v8, -v2
	v_cndmask_b32_e64 v7, 0, 1, vcc
	v_add_u32_e32 v9, 0xfffffc10, v9
	v_cvt_f32_f16_e32 v2, v2
	v_or_b32_e32 v7, v13, v7
	v_lshl_or_b32 v11, v9, 12, v0
	v_cmp_gt_i32_e32 vcc, 1, v9
	v_cndmask_b32_e32 v7, v11, v7, vcc
	v_and_b32_e32 v11, 7, v7
	v_cmp_lt_i32_e32 vcc, 5, v11
	v_cmp_eq_u32_e64 s[0:1], 3, v11
	v_lshrrev_b32_e32 v11, 2, v7
	v_cvt_f64_f32_e32 v[7:8], v2
	s_or_b64 vcc, s[0:1], vcc
	v_addc_co_u32_e32 v2, vcc, 0, v11, vcc
	v_mul_f64 v[7:8], v[7:8], s[2:3]
	v_cmp_gt_i32_e32 vcc, 31, v9
	v_cndmask_b32_e32 v2, v15, v2, vcc
	v_cmp_ne_u32_e32 vcc, 0, v0
	v_cndmask_b32_e64 v0, 0, 1, vcc
	v_lshl_or_b32 v0, v0, 9, v15
	v_cmp_eq_u32_e32 vcc, s10, v9
	v_cndmask_b32_e32 v0, v2, v0, vcc
	v_lshrrev_b32_e32 v1, 16, v1
	v_and_or_b32 v2, v1, s11, v0
	v_and_or_b32 v0, v8, s6, v7
	v_cmp_ne_u32_e32 vcc, 0, v0
	v_cndmask_b32_e64 v0, 0, 1, vcc
	v_lshrrev_b32_e32 v1, 8, v8
	v_bfe_u32 v7, v8, 20, 11
	v_and_or_b32 v0, v1, s7, v0
	v_sub_u32_e32 v9, 0x3f1, v7
	v_or_b32_e32 v1, 0x1000, v0
	v_med3_i32 v9, v9, 0, 13
	v_lshrrev_b32_e32 v11, v9, v1
	v_lshlrev_b32_e32 v9, v9, v11
	v_cmp_ne_u32_e32 vcc, v9, v1
	v_cndmask_b32_e64 v1, 0, 1, vcc
	v_add_u32_e32 v7, 0xfffffc10, v7
	v_or_b32_e32 v1, v11, v1
	v_lshl_or_b32 v9, v7, 12, v0
	v_cmp_gt_i32_e32 vcc, 1, v7
	v_cndmask_b32_e32 v1, v9, v1, vcc
	v_and_b32_e32 v9, 7, v1
	v_cmp_lt_i32_e32 vcc, 5, v9
	v_cmp_eq_u32_e64 s[0:1], 3, v9
	v_lshrrev_b32_e32 v9, 16, v10
	v_lshrrev_b32_e32 v1, 2, v1
	s_or_b64 vcc, s[0:1], vcc
	v_mul_f16_sdwa v11, v46, v9 dst_sel:DWORD dst_unused:UNUSED_PAD src0_sel:WORD_1 src1_sel:DWORD
	v_addc_co_u32_e32 v1, vcc, 0, v1, vcc
	v_fma_f16 v11, v46, v10, v11
	v_cmp_gt_i32_e32 vcc, 31, v7
	v_cvt_f32_f16_e32 v11, v11
	v_cndmask_b32_e32 v1, v15, v1, vcc
	v_cmp_ne_u32_e32 vcc, 0, v0
	v_cndmask_b32_e64 v0, 0, 1, vcc
	v_lshl_or_b32 v0, v0, 9, v15
	v_cmp_eq_u32_e32 vcc, s10, v7
	v_cndmask_b32_e32 v7, v1, v0, vcc
	v_cvt_f64_f32_e32 v[0:1], v11
	v_lshrrev_b32_e32 v8, 16, v8
	v_and_or_b32 v7, v8, s11, v7
	v_and_b32_e32 v2, 0xffff, v2
	v_mul_f64 v[0:1], v[0:1], s[2:3]
	v_lshl_or_b32 v2, v7, 16, v2
	v_mov_b32_e32 v7, s4
	v_add_co_u32_e32 v5, vcc, s5, v5
	v_addc_co_u32_e32 v6, vcc, v6, v7, vcc
	global_store_dword v[5:6], v2, off
	v_and_or_b32 v0, v1, s6, v0
	v_cmp_ne_u32_e32 vcc, 0, v0
	v_cndmask_b32_e64 v0, 0, 1, vcc
	v_lshrrev_b32_e32 v2, 8, v1
	v_bfe_u32 v7, v1, 20, 11
	v_and_or_b32 v0, v2, s7, v0
	v_sub_u32_e32 v8, 0x3f1, v7
	v_or_b32_e32 v2, 0x1000, v0
	v_med3_i32 v8, v8, 0, 13
	v_lshrrev_b32_e32 v11, v8, v2
	v_lshlrev_b32_e32 v8, v8, v11
	v_cmp_ne_u32_e32 vcc, v8, v2
	v_mul_f16_sdwa v8, v46, v10 dst_sel:DWORD dst_unused:UNUSED_PAD src0_sel:WORD_1 src1_sel:DWORD
	v_cndmask_b32_e64 v2, 0, 1, vcc
	v_fma_f16 v8, v46, v9, -v8
	v_or_b32_e32 v2, v11, v2
	v_add_u32_e32 v11, 0xfffffc10, v7
	v_cvt_f32_f16_e32 v8, v8
	v_lshl_or_b32 v7, v11, 12, v0
	v_cmp_gt_i32_e32 vcc, 1, v11
	v_cndmask_b32_e32 v2, v7, v2, vcc
	v_and_b32_e32 v7, 7, v2
	v_cmp_lt_i32_e32 vcc, 5, v7
	v_cmp_eq_u32_e64 s[0:1], 3, v7
	v_cvt_f64_f32_e32 v[7:8], v8
	v_lshrrev_b32_e32 v2, 2, v2
	s_or_b64 vcc, s[0:1], vcc
	v_addc_co_u32_e32 v2, vcc, 0, v2, vcc
	v_mul_f64 v[7:8], v[7:8], s[2:3]
	v_cmp_gt_i32_e32 vcc, 31, v11
	v_cndmask_b32_e32 v2, v15, v2, vcc
	v_cmp_ne_u32_e32 vcc, 0, v0
	v_cndmask_b32_e64 v0, 0, 1, vcc
	v_lshl_or_b32 v0, v0, 9, v15
	v_cmp_eq_u32_e32 vcc, s10, v11
	v_cndmask_b32_e32 v0, v2, v0, vcc
	v_lshrrev_b32_e32 v1, 16, v1
	v_and_or_b32 v2, v1, s11, v0
	v_and_or_b32 v0, v8, s6, v7
	v_cmp_ne_u32_e32 vcc, 0, v0
	v_cndmask_b32_e64 v0, 0, 1, vcc
	v_lshrrev_b32_e32 v1, 8, v8
	v_bfe_u32 v7, v8, 20, 11
	v_and_or_b32 v0, v1, s7, v0
	v_sub_u32_e32 v9, 0x3f1, v7
	v_or_b32_e32 v1, 0x1000, v0
	v_med3_i32 v9, v9, 0, 13
	v_lshrrev_b32_e32 v10, v9, v1
	v_lshlrev_b32_e32 v9, v9, v10
	v_cmp_ne_u32_e32 vcc, v9, v1
	v_cndmask_b32_e64 v1, 0, 1, vcc
	v_add_u32_e32 v7, 0xfffffc10, v7
	v_or_b32_e32 v1, v10, v1
	v_lshl_or_b32 v9, v7, 12, v0
	v_cmp_gt_i32_e32 vcc, 1, v7
	v_cndmask_b32_e32 v1, v9, v1, vcc
	v_and_b32_e32 v9, 7, v1
	v_cmp_lt_i32_e32 vcc, 5, v9
	v_cmp_eq_u32_e64 s[0:1], 3, v9
	v_lshrrev_b32_e32 v9, 16, v3
	v_lshrrev_b32_e32 v1, 2, v1
	s_or_b64 vcc, s[0:1], vcc
	v_mul_f16_sdwa v10, v44, v9 dst_sel:DWORD dst_unused:UNUSED_PAD src0_sel:WORD_1 src1_sel:DWORD
	v_addc_co_u32_e32 v1, vcc, 0, v1, vcc
	v_fma_f16 v10, v44, v3, v10
	v_cmp_gt_i32_e32 vcc, 31, v7
	v_cvt_f32_f16_e32 v10, v10
	v_cndmask_b32_e32 v1, v15, v1, vcc
	v_cmp_ne_u32_e32 vcc, 0, v0
	v_cndmask_b32_e64 v0, 0, 1, vcc
	v_lshl_or_b32 v0, v0, 9, v15
	v_cmp_eq_u32_e32 vcc, s10, v7
	v_cndmask_b32_e32 v7, v1, v0, vcc
	v_cvt_f64_f32_e32 v[0:1], v10
	v_lshrrev_b32_e32 v8, 16, v8
	v_and_or_b32 v7, v8, s11, v7
	v_and_b32_e32 v2, 0xffff, v2
	v_mul_f64 v[0:1], v[0:1], s[2:3]
	v_lshl_or_b32 v2, v7, 16, v2
	v_mov_b32_e32 v7, s4
	v_add_co_u32_e32 v5, vcc, s5, v5
	v_addc_co_u32_e32 v6, vcc, v6, v7, vcc
	global_store_dword v[5:6], v2, off
	v_and_or_b32 v0, v1, s6, v0
	v_cmp_ne_u32_e32 vcc, 0, v0
	v_cndmask_b32_e64 v0, 0, 1, vcc
	v_lshrrev_b32_e32 v2, 8, v1
	v_bfe_u32 v7, v1, 20, 11
	v_and_or_b32 v0, v2, s7, v0
	v_sub_u32_e32 v8, 0x3f1, v7
	v_or_b32_e32 v2, 0x1000, v0
	v_med3_i32 v8, v8, 0, 13
	v_lshrrev_b32_e32 v10, v8, v2
	v_lshlrev_b32_e32 v8, v8, v10
	v_mul_f16_sdwa v3, v44, v3 dst_sel:DWORD dst_unused:UNUSED_PAD src0_sel:WORD_1 src1_sel:DWORD
	v_cmp_ne_u32_e32 vcc, v8, v2
	v_fma_f16 v3, v44, v9, -v3
	v_cndmask_b32_e64 v2, 0, 1, vcc
	v_add_u32_e32 v7, 0xfffffc10, v7
	v_cvt_f32_f16_e32 v3, v3
	v_or_b32_e32 v2, v10, v2
	v_lshl_or_b32 v8, v7, 12, v0
	v_cmp_gt_i32_e32 vcc, 1, v7
	v_cndmask_b32_e32 v2, v8, v2, vcc
	v_and_b32_e32 v8, 7, v2
	v_cmp_lt_i32_e32 vcc, 5, v8
	v_cmp_eq_u32_e64 s[0:1], 3, v8
	v_lshrrev_b32_e32 v8, 2, v2
	v_cvt_f64_f32_e32 v[2:3], v3
	s_or_b64 vcc, s[0:1], vcc
	v_addc_co_u32_e32 v8, vcc, 0, v8, vcc
	v_mul_f64 v[2:3], v[2:3], s[2:3]
	v_cmp_gt_i32_e32 vcc, 31, v7
	v_cndmask_b32_e32 v8, v15, v8, vcc
	v_cmp_ne_u32_e32 vcc, 0, v0
	v_cndmask_b32_e64 v0, 0, 1, vcc
	v_lshl_or_b32 v0, v0, 9, v15
	v_cmp_eq_u32_e32 vcc, s10, v7
	v_cndmask_b32_e32 v0, v8, v0, vcc
	v_lshrrev_b32_e32 v1, 16, v1
	v_and_or_b32 v7, v1, s11, v0
	v_and_or_b32 v0, v3, s6, v2
	v_cmp_ne_u32_e32 vcc, 0, v0
	v_cndmask_b32_e64 v0, 0, 1, vcc
	v_lshrrev_b32_e32 v1, 8, v3
	v_bfe_u32 v2, v3, 20, 11
	v_and_or_b32 v0, v1, s7, v0
	v_sub_u32_e32 v8, 0x3f1, v2
	v_or_b32_e32 v1, 0x1000, v0
	v_med3_i32 v8, v8, 0, 13
	v_lshrrev_b32_e32 v9, v8, v1
	v_lshlrev_b32_e32 v8, v8, v9
	v_cmp_ne_u32_e32 vcc, v8, v1
	v_cndmask_b32_e64 v1, 0, 1, vcc
	v_add_u32_e32 v2, 0xfffffc10, v2
	v_or_b32_e32 v1, v9, v1
	v_lshl_or_b32 v8, v2, 12, v0
	v_cmp_gt_i32_e32 vcc, 1, v2
	v_cndmask_b32_e32 v1, v8, v1, vcc
	v_and_b32_e32 v8, 7, v1
	v_cmp_lt_i32_e32 vcc, 5, v8
	v_cmp_eq_u32_e64 s[0:1], 3, v8
	v_lshrrev_b32_e32 v8, 16, v12
	v_lshrrev_b32_e32 v1, 2, v1
	s_or_b64 vcc, s[0:1], vcc
	v_mul_f16_sdwa v9, v43, v8 dst_sel:DWORD dst_unused:UNUSED_PAD src0_sel:WORD_1 src1_sel:DWORD
	v_addc_co_u32_e32 v1, vcc, 0, v1, vcc
	v_fma_f16 v9, v43, v12, v9
	v_cmp_gt_i32_e32 vcc, 31, v2
	v_cvt_f32_f16_e32 v9, v9
	v_cndmask_b32_e32 v1, v15, v1, vcc
	v_cmp_ne_u32_e32 vcc, 0, v0
	v_cndmask_b32_e64 v0, 0, 1, vcc
	v_lshl_or_b32 v0, v0, 9, v15
	v_cmp_eq_u32_e32 vcc, s10, v2
	v_cndmask_b32_e32 v2, v1, v0, vcc
	v_cvt_f64_f32_e32 v[0:1], v9
	v_lshrrev_b32_e32 v3, 16, v3
	v_and_or_b32 v2, v3, s11, v2
	v_and_b32_e32 v3, 0xffff, v7
	v_mul_f64 v[0:1], v[0:1], s[2:3]
	v_lshl_or_b32 v7, v2, 16, v3
	v_mov_b32_e32 v3, s4
	v_add_co_u32_e32 v2, vcc, s5, v5
	v_addc_co_u32_e32 v3, vcc, v6, v3, vcc
	global_store_dword v[2:3], v7, off
	v_and_or_b32 v0, v1, s6, v0
	v_cmp_ne_u32_e32 vcc, 0, v0
	v_cndmask_b32_e64 v0, 0, 1, vcc
	v_lshrrev_b32_e32 v5, 8, v1
	v_bfe_u32 v6, v1, 20, 11
	v_and_or_b32 v0, v5, s7, v0
	v_sub_u32_e32 v7, 0x3f1, v6
	v_or_b32_e32 v5, 0x1000, v0
	v_med3_i32 v7, v7, 0, 13
	v_lshrrev_b32_e32 v9, v7, v5
	v_lshlrev_b32_e32 v7, v7, v9
	v_cmp_ne_u32_e32 vcc, v7, v5
	v_cndmask_b32_e64 v5, 0, 1, vcc
	v_or_b32_e32 v5, v9, v5
	v_mul_f16_sdwa v9, v43, v12 dst_sel:DWORD dst_unused:UNUSED_PAD src0_sel:WORD_1 src1_sel:DWORD
	v_fma_f16 v8, v43, v8, -v9
	v_add_u32_e32 v7, 0xfffffc10, v6
	v_cvt_f32_f16_e32 v8, v8
	v_lshl_or_b32 v6, v7, 12, v0
	v_cmp_gt_i32_e32 vcc, 1, v7
	v_cndmask_b32_e32 v5, v6, v5, vcc
	v_and_b32_e32 v6, 7, v5
	v_cmp_lt_i32_e32 vcc, 5, v6
	v_cmp_eq_u32_e64 s[0:1], 3, v6
	v_lshrrev_b32_e32 v9, 2, v5
	v_cvt_f64_f32_e32 v[5:6], v8
	s_or_b64 vcc, s[0:1], vcc
	v_addc_co_u32_e32 v8, vcc, 0, v9, vcc
	v_mul_f64 v[5:6], v[5:6], s[2:3]
	v_cmp_gt_i32_e32 vcc, 31, v7
	v_cndmask_b32_e32 v8, v15, v8, vcc
	v_cmp_ne_u32_e32 vcc, 0, v0
	v_cndmask_b32_e64 v0, 0, 1, vcc
	v_lshl_or_b32 v0, v0, 9, v15
	v_cmp_eq_u32_e32 vcc, s10, v7
	v_cndmask_b32_e32 v0, v8, v0, vcc
	v_lshrrev_b32_e32 v1, 16, v1
	v_and_or_b32 v7, v1, s11, v0
	v_and_or_b32 v0, v6, s6, v5
	v_cmp_ne_u32_e32 vcc, 0, v0
	v_cndmask_b32_e64 v0, 0, 1, vcc
	v_lshrrev_b32_e32 v1, 8, v6
	v_bfe_u32 v5, v6, 20, 11
	v_and_or_b32 v0, v1, s7, v0
	v_sub_u32_e32 v8, 0x3f1, v5
	v_or_b32_e32 v1, 0x1000, v0
	v_med3_i32 v8, v8, 0, 13
	v_lshrrev_b32_e32 v9, v8, v1
	v_lshlrev_b32_e32 v8, v8, v9
	v_cmp_ne_u32_e32 vcc, v8, v1
	v_cndmask_b32_e64 v1, 0, 1, vcc
	v_add_u32_e32 v5, 0xfffffc10, v5
	v_or_b32_e32 v1, v9, v1
	v_lshl_or_b32 v8, v5, 12, v0
	v_cmp_gt_i32_e32 vcc, 1, v5
	v_cndmask_b32_e32 v1, v8, v1, vcc
	v_and_b32_e32 v8, 7, v1
	v_cmp_lt_i32_e32 vcc, 5, v8
	v_cmp_eq_u32_e64 s[0:1], 3, v8
	v_lshrrev_b32_e32 v8, 16, v4
	v_lshrrev_b32_e32 v1, 2, v1
	s_or_b64 vcc, s[0:1], vcc
	v_mul_f16_sdwa v9, v42, v8 dst_sel:DWORD dst_unused:UNUSED_PAD src0_sel:WORD_1 src1_sel:DWORD
	v_addc_co_u32_e32 v1, vcc, 0, v1, vcc
	v_fma_f16 v9, v42, v4, v9
	v_cmp_gt_i32_e32 vcc, 31, v5
	v_cvt_f32_f16_e32 v9, v9
	v_cndmask_b32_e32 v1, v15, v1, vcc
	v_cmp_ne_u32_e32 vcc, 0, v0
	v_cndmask_b32_e64 v0, 0, 1, vcc
	v_lshl_or_b32 v0, v0, 9, v15
	v_cmp_eq_u32_e32 vcc, s10, v5
	v_cndmask_b32_e32 v5, v1, v0, vcc
	v_cvt_f64_f32_e32 v[0:1], v9
	v_lshrrev_b32_e32 v6, 16, v6
	v_and_or_b32 v5, v6, s11, v5
	v_and_b32_e32 v6, 0xffff, v7
	v_mul_f64 v[0:1], v[0:1], s[2:3]
	v_lshl_or_b32 v5, v5, 16, v6
	v_mov_b32_e32 v6, s4
	v_add_co_u32_e32 v2, vcc, s5, v2
	v_addc_co_u32_e32 v3, vcc, v3, v6, vcc
	global_store_dword v[2:3], v5, off
	v_and_or_b32 v0, v1, s6, v0
	v_cmp_ne_u32_e32 vcc, 0, v0
	v_cndmask_b32_e64 v0, 0, 1, vcc
	v_lshrrev_b32_e32 v5, 8, v1
	v_bfe_u32 v6, v1, 20, 11
	v_and_or_b32 v0, v5, s7, v0
	v_sub_u32_e32 v7, 0x3f1, v6
	v_or_b32_e32 v5, 0x1000, v0
	v_med3_i32 v7, v7, 0, 13
	v_lshrrev_b32_e32 v9, v7, v5
	v_lshlrev_b32_e32 v7, v7, v9
	v_mul_f16_sdwa v4, v42, v4 dst_sel:DWORD dst_unused:UNUSED_PAD src0_sel:WORD_1 src1_sel:DWORD
	v_cmp_ne_u32_e32 vcc, v7, v5
	v_fma_f16 v4, v42, v8, -v4
	v_cndmask_b32_e64 v5, 0, 1, vcc
	v_add_u32_e32 v6, 0xfffffc10, v6
	v_cvt_f32_f16_e32 v4, v4
	v_or_b32_e32 v5, v9, v5
	v_lshl_or_b32 v7, v6, 12, v0
	v_cmp_gt_i32_e32 vcc, 1, v6
	v_cndmask_b32_e32 v5, v7, v5, vcc
	v_and_b32_e32 v7, 7, v5
	v_cmp_lt_i32_e32 vcc, 5, v7
	v_cmp_eq_u32_e64 s[0:1], 3, v7
	v_lshrrev_b32_e32 v7, 2, v5
	v_cvt_f64_f32_e32 v[4:5], v4
	s_or_b64 vcc, s[0:1], vcc
	v_addc_co_u32_e32 v7, vcc, 0, v7, vcc
	v_mul_f64 v[4:5], v[4:5], s[2:3]
	v_cmp_gt_i32_e32 vcc, 31, v6
	v_cndmask_b32_e32 v7, v15, v7, vcc
	v_cmp_ne_u32_e32 vcc, 0, v0
	v_cndmask_b32_e64 v0, 0, 1, vcc
	v_lshl_or_b32 v0, v0, 9, v15
	v_cmp_eq_u32_e32 vcc, s10, v6
	v_cndmask_b32_e32 v0, v7, v0, vcc
	v_lshrrev_b32_e32 v1, 16, v1
	v_and_or_b32 v6, v1, s11, v0
	v_and_or_b32 v0, v5, s6, v4
	v_cmp_ne_u32_e32 vcc, 0, v0
	v_cndmask_b32_e64 v0, 0, 1, vcc
	v_lshrrev_b32_e32 v1, 8, v5
	v_bfe_u32 v4, v5, 20, 11
	v_and_or_b32 v0, v1, s7, v0
	v_sub_u32_e32 v7, 0x3f1, v4
	v_or_b32_e32 v1, 0x1000, v0
	v_med3_i32 v7, v7, 0, 13
	v_lshrrev_b32_e32 v8, v7, v1
	v_lshlrev_b32_e32 v7, v7, v8
	v_cmp_ne_u32_e32 vcc, v7, v1
	v_cndmask_b32_e64 v1, 0, 1, vcc
	v_add_u32_e32 v4, 0xfffffc10, v4
	v_or_b32_e32 v1, v8, v1
	v_lshl_or_b32 v7, v4, 12, v0
	v_cmp_gt_i32_e32 vcc, 1, v4
	v_cndmask_b32_e32 v1, v7, v1, vcc
	v_and_b32_e32 v7, 7, v1
	v_cmp_lt_i32_e32 vcc, 5, v7
	v_cmp_eq_u32_e64 s[0:1], 3, v7
	v_lshrrev_b32_e32 v7, 16, v14
	v_lshrrev_b32_e32 v1, 2, v1
	s_or_b64 vcc, s[0:1], vcc
	v_mul_f16_sdwa v8, v41, v7 dst_sel:DWORD dst_unused:UNUSED_PAD src0_sel:WORD_1 src1_sel:DWORD
	v_addc_co_u32_e32 v1, vcc, 0, v1, vcc
	v_fma_f16 v8, v41, v14, v8
	v_cmp_gt_i32_e32 vcc, 31, v4
	v_cvt_f32_f16_e32 v8, v8
	v_cndmask_b32_e32 v1, v15, v1, vcc
	v_cmp_ne_u32_e32 vcc, 0, v0
	v_cndmask_b32_e64 v0, 0, 1, vcc
	v_lshl_or_b32 v0, v0, 9, v15
	v_cmp_eq_u32_e32 vcc, s10, v4
	v_cndmask_b32_e32 v4, v1, v0, vcc
	v_cvt_f64_f32_e32 v[0:1], v8
	v_lshrrev_b32_e32 v5, 16, v5
	v_and_or_b32 v4, v5, s11, v4
	v_and_b32_e32 v5, 0xffff, v6
	v_mul_f64 v[0:1], v[0:1], s[2:3]
	v_lshl_or_b32 v4, v4, 16, v5
	v_mov_b32_e32 v5, s4
	v_add_co_u32_e32 v2, vcc, s5, v2
	v_addc_co_u32_e32 v3, vcc, v3, v5, vcc
	global_store_dword v[2:3], v4, off
	v_and_or_b32 v0, v1, s6, v0
	v_cmp_ne_u32_e32 vcc, 0, v0
	v_cndmask_b32_e64 v0, 0, 1, vcc
	v_lshrrev_b32_e32 v4, 8, v1
	v_bfe_u32 v5, v1, 20, 11
	v_and_or_b32 v0, v4, s7, v0
	v_sub_u32_e32 v6, 0x3f1, v5
	v_or_b32_e32 v4, 0x1000, v0
	v_med3_i32 v6, v6, 0, 13
	v_lshrrev_b32_e32 v8, v6, v4
	v_lshlrev_b32_e32 v6, v6, v8
	v_cmp_ne_u32_e32 vcc, v6, v4
	v_cndmask_b32_e64 v4, 0, 1, vcc
	v_or_b32_e32 v4, v8, v4
	v_mul_f16_sdwa v8, v41, v14 dst_sel:DWORD dst_unused:UNUSED_PAD src0_sel:WORD_1 src1_sel:DWORD
	v_fma_f16 v7, v41, v7, -v8
	v_add_u32_e32 v6, 0xfffffc10, v5
	v_cvt_f32_f16_e32 v7, v7
	v_lshl_or_b32 v5, v6, 12, v0
	v_cmp_gt_i32_e32 vcc, 1, v6
	v_cndmask_b32_e32 v4, v5, v4, vcc
	v_and_b32_e32 v5, 7, v4
	v_cmp_lt_i32_e32 vcc, 5, v5
	v_cmp_eq_u32_e64 s[0:1], 3, v5
	v_lshrrev_b32_e32 v8, 2, v4
	v_cvt_f64_f32_e32 v[4:5], v7
	s_or_b64 vcc, s[0:1], vcc
	v_addc_co_u32_e32 v7, vcc, 0, v8, vcc
	v_mul_f64 v[4:5], v[4:5], s[2:3]
	v_cmp_gt_i32_e32 vcc, 31, v6
	v_cndmask_b32_e32 v7, v15, v7, vcc
	v_cmp_ne_u32_e32 vcc, 0, v0
	v_cndmask_b32_e64 v0, 0, 1, vcc
	v_lshl_or_b32 v0, v0, 9, v15
	v_cmp_eq_u32_e32 vcc, s10, v6
	v_cndmask_b32_e32 v0, v7, v0, vcc
	v_lshrrev_b32_e32 v1, 16, v1
	v_and_or_b32 v0, v1, s11, v0
	v_and_or_b32 v1, v5, s6, v4
	v_cmp_ne_u32_e32 vcc, 0, v1
	v_cndmask_b32_e64 v1, 0, 1, vcc
	v_lshrrev_b32_e32 v4, 8, v5
	v_bfe_u32 v6, v5, 20, 11
	v_and_or_b32 v1, v4, s7, v1
	v_sub_u32_e32 v7, 0x3f1, v6
	v_or_b32_e32 v4, 0x1000, v1
	v_med3_i32 v7, v7, 0, 13
	v_lshrrev_b32_e32 v8, v7, v4
	v_lshlrev_b32_e32 v7, v7, v8
	v_cmp_ne_u32_e32 vcc, v7, v4
	v_cndmask_b32_e64 v4, 0, 1, vcc
	v_add_u32_e32 v6, 0xfffffc10, v6
	v_or_b32_e32 v4, v8, v4
	v_lshl_or_b32 v7, v6, 12, v1
	v_cmp_gt_i32_e32 vcc, 1, v6
	v_cndmask_b32_e32 v4, v7, v4, vcc
	v_and_b32_e32 v7, 7, v4
	v_cmp_lt_i32_e32 vcc, 5, v7
	v_cmp_eq_u32_e64 s[0:1], 3, v7
	v_lshrrev_b32_e32 v4, 2, v4
	s_or_b64 vcc, s[0:1], vcc
	v_addc_co_u32_e32 v4, vcc, 0, v4, vcc
	v_cmp_gt_i32_e32 vcc, 31, v6
	v_cndmask_b32_e32 v4, v15, v4, vcc
	v_cmp_ne_u32_e32 vcc, 0, v1
	v_cndmask_b32_e64 v1, 0, 1, vcc
	v_lshl_or_b32 v1, v1, 9, v15
	v_cmp_eq_u32_e32 vcc, s10, v6
	v_cndmask_b32_e32 v1, v4, v1, vcc
	v_lshrrev_b32_e32 v4, 16, v5
	v_and_or_b32 v1, v4, s11, v1
	v_and_b32_e32 v0, 0xffff, v0
	v_lshl_or_b32 v4, v1, 16, v0
	v_mov_b32_e32 v1, s4
	v_add_co_u32_e32 v0, vcc, s5, v2
	v_addc_co_u32_e32 v1, vcc, v3, v1, vcc
	global_store_dword v[0:1], v4, off
.LBB0_2:
	s_endpgm
	.section	.rodata,"a",@progbits
	.p2align	6, 0x0
	.amdhsa_kernel bluestein_single_back_len150_dim1_half_op_CI_CI
		.amdhsa_group_segment_fixed_size 7200
		.amdhsa_private_segment_fixed_size 0
		.amdhsa_kernarg_size 104
		.amdhsa_user_sgpr_count 6
		.amdhsa_user_sgpr_private_segment_buffer 1
		.amdhsa_user_sgpr_dispatch_ptr 0
		.amdhsa_user_sgpr_queue_ptr 0
		.amdhsa_user_sgpr_kernarg_segment_ptr 1
		.amdhsa_user_sgpr_dispatch_id 0
		.amdhsa_user_sgpr_flat_scratch_init 0
		.amdhsa_user_sgpr_private_segment_size 0
		.amdhsa_uses_dynamic_stack 0
		.amdhsa_system_sgpr_private_segment_wavefront_offset 0
		.amdhsa_system_sgpr_workgroup_id_x 1
		.amdhsa_system_sgpr_workgroup_id_y 0
		.amdhsa_system_sgpr_workgroup_id_z 0
		.amdhsa_system_sgpr_workgroup_info 0
		.amdhsa_system_vgpr_workitem_id 0
		.amdhsa_next_free_vgpr 139
		.amdhsa_next_free_sgpr 21
		.amdhsa_reserve_vcc 1
		.amdhsa_reserve_flat_scratch 0
		.amdhsa_float_round_mode_32 0
		.amdhsa_float_round_mode_16_64 0
		.amdhsa_float_denorm_mode_32 3
		.amdhsa_float_denorm_mode_16_64 3
		.amdhsa_dx10_clamp 1
		.amdhsa_ieee_mode 1
		.amdhsa_fp16_overflow 0
		.amdhsa_exception_fp_ieee_invalid_op 0
		.amdhsa_exception_fp_denorm_src 0
		.amdhsa_exception_fp_ieee_div_zero 0
		.amdhsa_exception_fp_ieee_overflow 0
		.amdhsa_exception_fp_ieee_underflow 0
		.amdhsa_exception_fp_ieee_inexact 0
		.amdhsa_exception_int_div_zero 0
	.end_amdhsa_kernel
	.text
.Lfunc_end0:
	.size	bluestein_single_back_len150_dim1_half_op_CI_CI, .Lfunc_end0-bluestein_single_back_len150_dim1_half_op_CI_CI
                                        ; -- End function
	.section	.AMDGPU.csdata,"",@progbits
; Kernel info:
; codeLenInByte = 37732
; NumSgprs: 25
; NumVgprs: 139
; ScratchSize: 0
; MemoryBound: 0
; FloatMode: 240
; IeeeMode: 1
; LDSByteSize: 7200 bytes/workgroup (compile time only)
; SGPRBlocks: 3
; VGPRBlocks: 34
; NumSGPRsForWavesPerEU: 25
; NumVGPRsForWavesPerEU: 139
; Occupancy: 1
; WaveLimiterHint : 1
; COMPUTE_PGM_RSRC2:SCRATCH_EN: 0
; COMPUTE_PGM_RSRC2:USER_SGPR: 6
; COMPUTE_PGM_RSRC2:TRAP_HANDLER: 0
; COMPUTE_PGM_RSRC2:TGID_X_EN: 1
; COMPUTE_PGM_RSRC2:TGID_Y_EN: 0
; COMPUTE_PGM_RSRC2:TGID_Z_EN: 0
; COMPUTE_PGM_RSRC2:TIDIG_COMP_CNT: 0
	.type	__hip_cuid_6c1907a7bc6a3e2f,@object ; @__hip_cuid_6c1907a7bc6a3e2f
	.section	.bss,"aw",@nobits
	.globl	__hip_cuid_6c1907a7bc6a3e2f
__hip_cuid_6c1907a7bc6a3e2f:
	.byte	0                               ; 0x0
	.size	__hip_cuid_6c1907a7bc6a3e2f, 1

	.ident	"AMD clang version 19.0.0git (https://github.com/RadeonOpenCompute/llvm-project roc-6.4.0 25133 c7fe45cf4b819c5991fe208aaa96edf142730f1d)"
	.section	".note.GNU-stack","",@progbits
	.addrsig
	.addrsig_sym __hip_cuid_6c1907a7bc6a3e2f
	.amdgpu_metadata
---
amdhsa.kernels:
  - .args:
      - .actual_access:  read_only
        .address_space:  global
        .offset:         0
        .size:           8
        .value_kind:     global_buffer
      - .actual_access:  read_only
        .address_space:  global
        .offset:         8
        .size:           8
        .value_kind:     global_buffer
      - .actual_access:  read_only
        .address_space:  global
        .offset:         16
        .size:           8
        .value_kind:     global_buffer
      - .actual_access:  read_only
        .address_space:  global
        .offset:         24
        .size:           8
        .value_kind:     global_buffer
      - .actual_access:  read_only
        .address_space:  global
        .offset:         32
        .size:           8
        .value_kind:     global_buffer
      - .offset:         40
        .size:           8
        .value_kind:     by_value
      - .address_space:  global
        .offset:         48
        .size:           8
        .value_kind:     global_buffer
      - .address_space:  global
        .offset:         56
        .size:           8
        .value_kind:     global_buffer
      - .address_space:  global
        .offset:         64
        .size:           8
        .value_kind:     global_buffer
      - .address_space:  global
        .offset:         72
        .size:           8
        .value_kind:     global_buffer
      - .offset:         80
        .size:           4
        .value_kind:     by_value
      - .address_space:  global
        .offset:         88
        .size:           8
        .value_kind:     global_buffer
      - .address_space:  global
        .offset:         96
        .size:           8
        .value_kind:     global_buffer
    .group_segment_fixed_size: 7200
    .kernarg_segment_align: 8
    .kernarg_segment_size: 104
    .language:       OpenCL C
    .language_version:
      - 2
      - 0
    .max_flat_workgroup_size: 60
    .name:           bluestein_single_back_len150_dim1_half_op_CI_CI
    .private_segment_fixed_size: 0
    .sgpr_count:     25
    .sgpr_spill_count: 0
    .symbol:         bluestein_single_back_len150_dim1_half_op_CI_CI.kd
    .uniform_work_group_size: 1
    .uses_dynamic_stack: false
    .vgpr_count:     139
    .vgpr_spill_count: 0
    .wavefront_size: 64
amdhsa.target:   amdgcn-amd-amdhsa--gfx906
amdhsa.version:
  - 1
  - 2
...

	.end_amdgpu_metadata
